;; amdgpu-corpus repo=ROCm/rocFFT kind=compiled arch=gfx950 opt=O3
	.text
	.amdgcn_target "amdgcn-amd-amdhsa--gfx950"
	.amdhsa_code_object_version 6
	.protected	fft_rtc_fwd_len663_factors_17_13_3_wgs_51_tpt_51_sp_op_CI_CI_sbrr_dirReg ; -- Begin function fft_rtc_fwd_len663_factors_17_13_3_wgs_51_tpt_51_sp_op_CI_CI_sbrr_dirReg
	.globl	fft_rtc_fwd_len663_factors_17_13_3_wgs_51_tpt_51_sp_op_CI_CI_sbrr_dirReg
	.p2align	8
	.type	fft_rtc_fwd_len663_factors_17_13_3_wgs_51_tpt_51_sp_op_CI_CI_sbrr_dirReg,@function
fft_rtc_fwd_len663_factors_17_13_3_wgs_51_tpt_51_sp_op_CI_CI_sbrr_dirReg: ; @fft_rtc_fwd_len663_factors_17_13_3_wgs_51_tpt_51_sp_op_CI_CI_sbrr_dirReg
; %bb.0:
	s_load_dwordx4 s[12:15], s[0:1], 0x18
	s_load_dwordx4 s[4:7], s[0:1], 0x0
	;; [unrolled: 1-line block ×3, first 2 shown]
	v_mul_u32_u24_e32 v1, 0x506, v0
	v_add_u32_sdwa v6, s2, v1 dst_sel:DWORD dst_unused:UNUSED_PAD src0_sel:DWORD src1_sel:WORD_1
	s_waitcnt lgkmcnt(0)
	s_load_dwordx2 s[18:19], s[12:13], 0x0
	s_load_dwordx2 s[16:17], s[14:15], 0x0
	v_mov_b32_e32 v4, 0
	v_cmp_lt_u64_e64 s[2:3], s[6:7], 2
	v_mov_b32_e32 v7, v4
	s_and_b64 vcc, exec, s[2:3]
	v_mov_b64_e32 v[2:3], 0
	s_cbranch_vccnz .LBB0_8
; %bb.1:
	s_load_dwordx2 s[2:3], s[0:1], 0x10
	s_add_u32 s20, s14, 8
	s_addc_u32 s21, s15, 0
	s_add_u32 s22, s12, 8
	s_addc_u32 s23, s13, 0
	s_waitcnt lgkmcnt(0)
	s_add_u32 s24, s2, 8
	v_mov_b64_e32 v[2:3], 0
	s_addc_u32 s25, s3, 0
	s_mov_b64 s[26:27], 1
	v_mov_b64_e32 v[28:29], v[2:3]
.LBB0_2:                                ; =>This Inner Loop Header: Depth=1
	s_load_dwordx2 s[28:29], s[24:25], 0x0
                                        ; implicit-def: $vgpr30_vgpr31
	s_waitcnt lgkmcnt(0)
	v_or_b32_e32 v5, s29, v7
	v_cmp_ne_u64_e32 vcc, 0, v[4:5]
	s_and_saveexec_b64 s[2:3], vcc
	s_xor_b64 s[30:31], exec, s[2:3]
	s_cbranch_execz .LBB0_4
; %bb.3:                                ;   in Loop: Header=BB0_2 Depth=1
	v_cvt_f32_u32_e32 v1, s28
	v_cvt_f32_u32_e32 v5, s29
	s_sub_u32 s2, 0, s28
	s_subb_u32 s3, 0, s29
	v_fmac_f32_e32 v1, 0x4f800000, v5
	v_rcp_f32_e32 v1, v1
	s_nop 0
	v_mul_f32_e32 v1, 0x5f7ffffc, v1
	v_mul_f32_e32 v5, 0x2f800000, v1
	v_trunc_f32_e32 v5, v5
	v_fmac_f32_e32 v1, 0xcf800000, v5
	v_cvt_u32_f32_e32 v5, v5
	v_cvt_u32_f32_e32 v1, v1
	v_mul_lo_u32 v8, s2, v5
	v_mul_hi_u32 v10, s2, v1
	v_mul_lo_u32 v9, s3, v1
	v_add_u32_e32 v10, v10, v8
	v_mul_lo_u32 v12, s2, v1
	v_add_u32_e32 v13, v10, v9
	v_mul_hi_u32 v8, v1, v12
	v_mul_hi_u32 v11, v1, v13
	v_mul_lo_u32 v10, v1, v13
	v_mov_b32_e32 v9, v4
	v_lshl_add_u64 v[8:9], v[8:9], 0, v[10:11]
	v_mul_hi_u32 v11, v5, v12
	v_mul_lo_u32 v12, v5, v12
	v_add_co_u32_e32 v8, vcc, v8, v12
	v_mul_hi_u32 v10, v5, v13
	s_nop 0
	v_addc_co_u32_e32 v8, vcc, v9, v11, vcc
	v_mov_b32_e32 v9, v4
	s_nop 0
	v_addc_co_u32_e32 v11, vcc, 0, v10, vcc
	v_mul_lo_u32 v10, v5, v13
	v_lshl_add_u64 v[8:9], v[8:9], 0, v[10:11]
	v_add_co_u32_e32 v1, vcc, v1, v8
	v_mul_lo_u32 v10, s2, v1
	s_nop 0
	v_addc_co_u32_e32 v5, vcc, v5, v9, vcc
	v_mul_lo_u32 v8, s2, v5
	v_mul_hi_u32 v9, s2, v1
	v_add_u32_e32 v8, v9, v8
	v_mul_lo_u32 v9, s3, v1
	v_add_u32_e32 v12, v8, v9
	v_mul_hi_u32 v14, v5, v10
	v_mul_lo_u32 v15, v5, v10
	v_mul_hi_u32 v9, v1, v12
	v_mul_lo_u32 v8, v1, v12
	v_mul_hi_u32 v10, v1, v10
	v_mov_b32_e32 v11, v4
	v_lshl_add_u64 v[8:9], v[10:11], 0, v[8:9]
	v_add_co_u32_e32 v8, vcc, v8, v15
	v_mul_hi_u32 v13, v5, v12
	s_nop 0
	v_addc_co_u32_e32 v8, vcc, v9, v14, vcc
	v_mul_lo_u32 v10, v5, v12
	s_nop 0
	v_addc_co_u32_e32 v11, vcc, 0, v13, vcc
	v_mov_b32_e32 v9, v4
	v_lshl_add_u64 v[8:9], v[8:9], 0, v[10:11]
	v_add_co_u32_e32 v1, vcc, v1, v8
	v_mul_hi_u32 v10, v6, v1
	s_nop 0
	v_addc_co_u32_e32 v5, vcc, v5, v9, vcc
	v_mad_u64_u32 v[8:9], s[2:3], v6, v5, 0
	v_mov_b32_e32 v11, v4
	v_lshl_add_u64 v[8:9], v[10:11], 0, v[8:9]
	v_mad_u64_u32 v[12:13], s[2:3], v7, v1, 0
	v_add_co_u32_e32 v1, vcc, v8, v12
	v_mad_u64_u32 v[10:11], s[2:3], v7, v5, 0
	s_nop 0
	v_addc_co_u32_e32 v8, vcc, v9, v13, vcc
	v_mov_b32_e32 v9, v4
	s_nop 0
	v_addc_co_u32_e32 v11, vcc, 0, v11, vcc
	v_lshl_add_u64 v[8:9], v[8:9], 0, v[10:11]
	v_mul_lo_u32 v1, s29, v8
	v_mul_lo_u32 v5, s28, v9
	v_mad_u64_u32 v[10:11], s[2:3], s28, v8, 0
	v_add3_u32 v1, v11, v5, v1
	v_sub_u32_e32 v5, v7, v1
	v_mov_b32_e32 v11, s29
	v_sub_co_u32_e32 v14, vcc, v6, v10
	v_lshl_add_u64 v[12:13], v[8:9], 0, 1
	s_nop 0
	v_subb_co_u32_e64 v5, s[2:3], v5, v11, vcc
	v_subrev_co_u32_e64 v10, s[2:3], s28, v14
	v_subb_co_u32_e32 v1, vcc, v7, v1, vcc
	s_nop 0
	v_subbrev_co_u32_e64 v5, s[2:3], 0, v5, s[2:3]
	v_cmp_le_u32_e64 s[2:3], s29, v5
	v_cmp_le_u32_e32 vcc, s29, v1
	s_nop 0
	v_cndmask_b32_e64 v11, 0, -1, s[2:3]
	v_cmp_le_u32_e64 s[2:3], s28, v10
	s_nop 1
	v_cndmask_b32_e64 v10, 0, -1, s[2:3]
	v_cmp_eq_u32_e64 s[2:3], s29, v5
	s_nop 1
	v_cndmask_b32_e64 v5, v11, v10, s[2:3]
	v_lshl_add_u64 v[10:11], v[8:9], 0, 2
	v_cmp_ne_u32_e64 s[2:3], 0, v5
	s_nop 1
	v_cndmask_b32_e64 v5, v13, v11, s[2:3]
	v_cndmask_b32_e64 v11, 0, -1, vcc
	v_cmp_le_u32_e32 vcc, s28, v14
	s_nop 1
	v_cndmask_b32_e64 v13, 0, -1, vcc
	v_cmp_eq_u32_e32 vcc, s29, v1
	s_nop 1
	v_cndmask_b32_e32 v1, v11, v13, vcc
	v_cmp_ne_u32_e32 vcc, 0, v1
	v_cndmask_b32_e64 v1, v12, v10, s[2:3]
	s_nop 0
	v_cndmask_b32_e32 v31, v9, v5, vcc
	v_cndmask_b32_e32 v30, v8, v1, vcc
.LBB0_4:                                ;   in Loop: Header=BB0_2 Depth=1
	s_andn2_saveexec_b64 s[2:3], s[30:31]
	s_cbranch_execz .LBB0_6
; %bb.5:                                ;   in Loop: Header=BB0_2 Depth=1
	v_cvt_f32_u32_e32 v1, s28
	s_sub_i32 s30, 0, s28
	v_mov_b32_e32 v31, v4
	v_rcp_iflag_f32_e32 v1, v1
	s_nop 0
	v_mul_f32_e32 v1, 0x4f7ffffe, v1
	v_cvt_u32_f32_e32 v1, v1
	v_mul_lo_u32 v5, s30, v1
	v_mul_hi_u32 v5, v1, v5
	v_add_u32_e32 v1, v1, v5
	v_mul_hi_u32 v1, v6, v1
	v_mul_lo_u32 v5, v1, s28
	v_sub_u32_e32 v5, v6, v5
	v_add_u32_e32 v8, 1, v1
	v_subrev_u32_e32 v9, s28, v5
	v_cmp_le_u32_e32 vcc, s28, v5
	s_nop 1
	v_cndmask_b32_e32 v5, v5, v9, vcc
	v_cndmask_b32_e32 v1, v1, v8, vcc
	v_add_u32_e32 v8, 1, v1
	v_cmp_le_u32_e32 vcc, s28, v5
	s_nop 1
	v_cndmask_b32_e32 v30, v1, v8, vcc
.LBB0_6:                                ;   in Loop: Header=BB0_2 Depth=1
	s_or_b64 exec, exec, s[2:3]
	v_mad_u64_u32 v[8:9], s[2:3], v30, s28, 0
	s_load_dwordx2 s[2:3], s[22:23], 0x0
	v_mul_lo_u32 v1, v31, s28
	v_mul_lo_u32 v5, v30, s29
	s_load_dwordx2 s[28:29], s[20:21], 0x0
	s_add_u32 s26, s26, 1
	v_add3_u32 v1, v9, v5, v1
	v_sub_co_u32_e32 v5, vcc, v6, v8
	s_addc_u32 s27, s27, 0
	s_nop 0
	v_subb_co_u32_e32 v1, vcc, v7, v1, vcc
	s_add_u32 s20, s20, 8
	s_waitcnt lgkmcnt(0)
	v_mul_lo_u32 v6, s2, v1
	v_mul_lo_u32 v7, s3, v5
	v_mad_u64_u32 v[2:3], s[2:3], s2, v5, v[2:3]
	s_addc_u32 s21, s21, 0
	v_add3_u32 v3, v7, v3, v6
	v_mul_lo_u32 v1, s28, v1
	v_mul_lo_u32 v6, s29, v5
	v_mad_u64_u32 v[28:29], s[2:3], s28, v5, v[28:29]
	s_add_u32 s22, s22, 8
	v_add3_u32 v29, v6, v29, v1
	s_addc_u32 s23, s23, 0
	v_mov_b64_e32 v[6:7], s[6:7]
	s_add_u32 s24, s24, 8
	v_cmp_ge_u64_e32 vcc, s[26:27], v[6:7]
	s_addc_u32 s25, s25, 0
	s_cbranch_vccnz .LBB0_9
; %bb.7:                                ;   in Loop: Header=BB0_2 Depth=1
	v_mov_b64_e32 v[6:7], v[30:31]
	s_branch .LBB0_2
.LBB0_8:
	v_mov_b64_e32 v[28:29], v[2:3]
	v_mov_b64_e32 v[30:31], v[6:7]
.LBB0_9:
	s_load_dwordx2 s[0:1], s[0:1], 0x28
	s_lshl_b64 s[20:21], s[6:7], 3
	s_mov_b32 s6, 0x5050506
	v_mul_hi_u32 v1, v0, s6
	v_mul_u32_u24_e32 v1, 51, v1
	v_sub_u32_e32 v172, v0, v1
	s_add_u32 s2, s14, s20
	s_waitcnt lgkmcnt(0)
	v_cmp_gt_u64_e32 vcc, s[0:1], v[30:31]
	v_cmp_gt_u32_e64 s[0:1], 39, v172
	v_mov_b32_e32 v0, 0
	s_addc_u32 s3, s15, s21
	s_and_b64 s[14:15], vcc, s[0:1]
	v_mov_b32_e32 v1, v0
                                        ; implicit-def: $vgpr52
                                        ; implicit-def: $vgpr54
                                        ; implicit-def: $vgpr56
                                        ; implicit-def: $vgpr58
                                        ; implicit-def: $vgpr62
                                        ; implicit-def: $vgpr64
                                        ; implicit-def: $vgpr66
                                        ; implicit-def: $vgpr44
                                        ; implicit-def: $vgpr70
                                        ; implicit-def: $vgpr72
                                        ; implicit-def: $vgpr46
                                        ; implicit-def: $vgpr38
                                        ; implicit-def: $vgpr40
                                        ; implicit-def: $vgpr42
                                        ; implicit-def: $vgpr48
                                        ; implicit-def: $vgpr50
	s_and_saveexec_b64 s[6:7], s[14:15]
	s_cbranch_execz .LBB0_11
; %bb.10:
	s_add_u32 s12, s12, s20
	s_addc_u32 s13, s13, s21
	s_load_dwordx2 s[12:13], s[12:13], 0x0
	v_add_u32_e32 v9, 0x4e, v172
	v_add_u32_e32 v11, 0x75, v172
	;; [unrolled: 1-line block ×4, first 2 shown]
	s_waitcnt lgkmcnt(0)
	v_mul_lo_u32 v4, s13, v30
	v_mul_lo_u32 v5, s12, v31
	v_mad_u64_u32 v[0:1], s[12:13], s12, v30, 0
	v_add3_u32 v1, v1, v5, v4
	v_mad_u64_u32 v[4:5], s[12:13], s18, v172, 0
	v_mov_b32_e32 v6, v5
	v_mad_u64_u32 v[6:7], s[12:13], s19, v172, v[6:7]
	v_lshl_add_u64 v[0:1], v[0:1], 3, s[8:9]
	v_add_u32_e32 v7, 39, v172
	v_lshl_add_u64 v[2:3], v[2:3], 3, v[0:1]
	v_mad_u64_u32 v[0:1], s[8:9], s18, v7, 0
	v_mov_b32_e32 v5, v6
	v_mov_b32_e32 v6, v1
	v_mad_u64_u32 v[6:7], s[8:9], s19, v7, v[6:7]
	v_mov_b32_e32 v1, v6
	v_lshl_add_u64 v[6:7], v[0:1], 3, v[2:3]
	v_mad_u64_u32 v[0:1], s[8:9], s18, v9, 0
	v_mov_b32_e32 v8, v1
	v_mad_u64_u32 v[8:9], s[8:9], s19, v9, v[8:9]
	v_mov_b32_e32 v1, v8
	v_lshl_add_u64 v[8:9], v[0:1], 3, v[2:3]
	v_mad_u64_u32 v[0:1], s[8:9], s18, v11, 0
	;; [unrolled: 5-line block ×4, first 2 shown]
	v_mov_b32_e32 v14, v1
	v_mad_u64_u32 v[14:15], s[8:9], s19, v15, v[14:15]
	v_lshl_add_u64 v[4:5], v[4:5], 3, v[2:3]
	v_mov_b32_e32 v1, v14
	v_lshl_add_u64 v[14:15], v[0:1], 3, v[2:3]
	global_load_dwordx2 v[0:1], v[4:5], off
	global_load_dwordx2 v[38:39], v[6:7], off
	;; [unrolled: 1-line block ×4, first 2 shown]
	v_add_u32_e32 v7, 0xea, v172
	v_mad_u64_u32 v[4:5], s[8:9], s18, v7, 0
	v_mov_b32_e32 v6, v5
	v_mad_u64_u32 v[6:7], s[8:9], s19, v7, v[6:7]
	v_add_u32_e32 v9, 0x111, v172
	v_mov_b32_e32 v5, v6
	v_mad_u64_u32 v[6:7], s[8:9], s18, v9, 0
	v_mov_b32_e32 v8, v7
	v_mad_u64_u32 v[8:9], s[8:9], s19, v9, v[8:9]
	v_mov_b32_e32 v7, v8
	v_lshl_add_u64 v[6:7], v[6:7], 3, v[2:3]
	v_lshl_add_u64 v[4:5], v[4:5], 3, v[2:3]
	global_load_dwordx2 v[48:49], v[12:13], off
	global_load_dwordx2 v[50:51], v[14:15], off
	;; [unrolled: 1-line block ×4, first 2 shown]
	v_add_u32_e32 v7, 0x138, v172
	v_mad_u64_u32 v[4:5], s[8:9], s18, v7, 0
	v_mov_b32_e32 v6, v5
	v_mad_u64_u32 v[6:7], s[8:9], s19, v7, v[6:7]
	v_add_u32_e32 v9, 0x15f, v172
	v_mov_b32_e32 v5, v6
	v_mad_u64_u32 v[6:7], s[8:9], s18, v9, 0
	v_mov_b32_e32 v8, v7
	v_mad_u64_u32 v[8:9], s[8:9], s19, v9, v[8:9]
	v_add_u32_e32 v11, 0x186, v172
	v_mov_b32_e32 v7, v8
	;; [unrolled: 5-line block ×8, first 2 shown]
	v_mad_u64_u32 v[20:21], s[8:9], s18, v23, 0
	v_mov_b32_e32 v22, v21
	v_mad_u64_u32 v[22:23], s[8:9], s19, v23, v[22:23]
	v_lshl_add_u64 v[4:5], v[4:5], 3, v[2:3]
	v_mov_b32_e32 v21, v22
	v_lshl_add_u64 v[6:7], v[6:7], 3, v[2:3]
	v_lshl_add_u64 v[8:9], v[8:9], 3, v[2:3]
	;; [unrolled: 1-line block ×8, first 2 shown]
	global_load_dwordx2 v[70:71], v[4:5], off
	global_load_dwordx2 v[72:73], v[6:7], off
	;; [unrolled: 1-line block ×9, first 2 shown]
.LBB0_11:
	s_or_b64 exec, exec, s[6:7]
	s_waitcnt vmcnt(1)
	v_pk_add_f32 v[2:3], v[40:41], v[54:55] neg_lo:[0,1] neg_hi:[0,1]
	v_pk_add_f32 v[18:19], v[40:41], v[54:55]
	v_pk_add_f32 v[4:5], v[40:41], v[54:55]
	v_mov_b32_e32 v19, v2
	v_mov_b32_e32 v4, v3
	v_pk_add_f32 v[2:3], v[42:43], v[56:57] neg_lo:[0,1] neg_hi:[0,1]
	v_pk_add_f32 v[20:21], v[42:43], v[56:57]
	v_pk_add_f32 v[6:7], v[42:43], v[56:57]
	v_mov_b32_e32 v21, v2
	v_mov_b32_e32 v6, v3
	;; [unrolled: 5-line block ×5, first 2 shown]
	v_pk_add_f32 v[2:3], v[44:45], v[66:67] neg_lo:[0,1] neg_hi:[0,1]
	v_pk_add_f32 v[34:35], v[44:45], v[66:67]
	v_pk_add_f32 v[14:15], v[44:45], v[66:67]
	s_mov_b32 s6, 0xbf65296c
	v_mov_b32_e32 v35, v2
	v_mov_b32_e32 v14, v3
	v_pk_add_f32 v[2:3], v[70:71], v[72:73] neg_lo:[0,1] neg_hi:[0,1]
	v_pk_add_f32 v[36:37], v[70:71], v[72:73]
	v_pk_add_f32 v[16:17], v[70:71], v[72:73]
	s_waitcnt vmcnt(0)
	v_pk_add_f32 v[60:61], v[38:39], v[52:53]
	v_pk_add_f32 v[68:69], v[38:39], v[52:53] neg_lo:[0,1] neg_hi:[0,1]
	s_mov_b32 s7, 0x3ee437d1
	s_mov_b32 s8, 0xbf4c4adb
	v_mov_b32_e32 v37, v2
	v_mov_b32_e32 v16, v3
	;; [unrolled: 1-line block ×4, first 2 shown]
	s_mov_b32 s58, s7
	s_mov_b32 s59, s6
	;; [unrolled: 1-line block ×4, first 2 shown]
	v_mov_b32_e32 v106, v69
	v_mov_b32_e32 v107, v61
	v_pk_mul_f32 v[108:109], v[2:3], s[58:59]
	s_mov_b32 s34, s9
	s_mov_b32 s35, s8
	;; [unrolled: 1-line block ×3, first 2 shown]
	v_pk_fma_f32 v[32:33], v[106:107], s[6:7], v[108:109] neg_lo:[0,0,1] neg_hi:[0,0,1]
	v_pk_fma_f32 v[110:111], v[106:107], s[6:7], v[108:109]
	v_pk_mul_f32 v[112:113], v[18:19], s[34:35]
	s_mov_b32 s12, s37
	s_mov_b32 s13, s36
	v_mov_b32_e32 v32, v110
	v_pk_fma_f32 v[74:75], v[4:5], s[8:9], v[112:113] neg_lo:[0,0,1] neg_hi:[0,0,1]
	v_pk_fma_f32 v[114:115], v[4:5], s[8:9], v[112:113]
	v_pk_mul_f32 v[116:117], v[20:21], s[12:13]
	s_mov_b32 s12, 0x3f763a35
	v_pk_add_f32 v[32:33], v[0:1], v[32:33]
	v_mov_b32_e32 v74, v114
	s_mov_b32 s13, 0xbe8c1d8e
	v_pk_add_f32 v[32:33], v[32:33], v[74:75]
	v_pk_fma_f32 v[74:75], v[6:7], s[36:37], v[116:117] neg_lo:[0,0,1] neg_hi:[0,0,1]
	v_pk_fma_f32 v[118:119], v[6:7], s[36:37], v[116:117]
	s_mov_b32 s56, s13
	s_mov_b32 s57, s12
	s_mov_b32 s24, 0x3f2c7751
	v_mov_b32_e32 v74, v118
	v_pk_mul_f32 v[120:121], v[22:23], s[56:57]
	s_mov_b32 s25, 0x3f3d2fb0
	v_pk_add_f32 v[32:33], v[32:33], v[74:75]
	v_pk_fma_f32 v[74:75], v[8:9], s[12:13], v[120:121] neg_lo:[0,0,1] neg_hi:[0,0,1]
	v_pk_fma_f32 v[122:123], v[8:9], s[12:13], v[120:121]
	s_mov_b32 s38, s25
	s_mov_b32 s39, s24
	s_mov_b32 s22, 0xbeb8f4ab
	v_mov_b32_e32 v74, v122
	v_pk_mul_f32 v[126:127], v[24:25], s[38:39]
	;; [unrolled: 9-line block ×4, first 2 shown]
	s_mov_b32 s19, 0xbf59a7d5
	v_pk_add_f32 v[32:33], v[32:33], v[74:75]
	v_pk_fma_f32 v[74:75], v[14:15], s[14:15], v[138:139] neg_lo:[0,0,1] neg_hi:[0,0,1]
	v_pk_fma_f32 v[136:137], v[14:15], s[14:15], v[138:139]
	s_mov_b32 s42, s19
	s_mov_b32 s43, s18
	v_mov_b32_e32 v74, v136
	v_pk_mul_f32 v[146:147], v[36:37], s[42:43]
	s_mov_b32 s20, 0xbe3c28d5
	v_pk_add_f32 v[32:33], v[32:33], v[74:75]
	v_pk_fma_f32 v[74:75], v[16:17], s[18:19], v[146:147] neg_lo:[0,0,1] neg_hi:[0,0,1]
	v_pk_fma_f32 v[144:145], v[16:17], s[18:19], v[146:147]
	v_pk_mul_f32 v[128:129], v[2:3], s[52:53]
	s_mov_b32 s54, s37
	s_mov_b32 s55, s20
	v_mov_b32_e32 v74, v144
	v_pk_fma_f32 v[2:3], v[106:107], s[14:15], v[128:129] neg_lo:[0,0,1] neg_hi:[0,0,1]
	v_pk_fma_f32 v[130:131], v[106:107], s[14:15], v[128:129]
	s_mov_b32 s21, s37
	v_pk_mul_f32 v[140:141], v[18:19], s[54:55]
	v_pk_add_f32 v[32:33], v[32:33], v[74:75]
	v_mov_b32_e32 v2, v130
	v_pk_fma_f32 v[74:75], v[4:5], s[20:21], v[140:141] neg_lo:[0,0,1] neg_hi:[0,0,1]
	v_pk_fma_f32 v[142:143], v[4:5], s[20:21], v[140:141]
	v_pk_add_f32 v[2:3], v[0:1], v[2:3]
	v_mov_b32_e32 v74, v142
	v_pk_mul_f32 v[148:149], v[20:21], s[56:57]
	s_mov_b32 s28, 0x3eb8f4ab
	v_pk_add_f32 v[2:3], v[2:3], v[74:75]
	v_pk_fma_f32 v[74:75], v[6:7], s[12:13], v[148:149] neg_lo:[0,0,1] neg_hi:[0,0,1]
	v_pk_fma_f32 v[150:151], v[6:7], s[12:13], v[148:149]
	s_mov_b32 s50, s23
	s_mov_b32 s51, s28
	v_mov_b32_e32 v74, v150
	s_mov_b32 s29, s23
	v_pk_mul_f32 v[152:153], v[22:23], s[50:51]
	v_pk_add_f32 v[2:3], v[2:3], v[74:75]
	v_pk_fma_f32 v[74:75], v[8:9], s[28:29], v[152:153] neg_lo:[0,0,1] neg_hi:[0,0,1]
	v_pk_fma_f32 v[154:155], v[8:9], s[28:29], v[152:153]
	v_pk_mul_f32 v[156:157], v[24:25], s[58:59]
	v_mov_b32_e32 v74, v154
	v_pk_add_f32 v[2:3], v[2:3], v[74:75]
	v_pk_fma_f32 v[74:75], v[10:11], s[6:7], v[156:157] neg_lo:[0,0,1] neg_hi:[0,0,1]
	v_pk_fma_f32 v[158:159], v[10:11], s[6:7], v[156:157]
	v_pk_mul_f32 v[160:161], v[26:27], s[42:43]
	v_mov_b32_e32 v74, v158
	s_mov_b32 s40, 0x3f4c4adb
	v_pk_add_f32 v[2:3], v[2:3], v[74:75]
	v_pk_fma_f32 v[74:75], v[12:13], s[18:19], v[160:161] neg_lo:[0,0,1] neg_hi:[0,0,1]
	v_pk_fma_f32 v[162:163], v[12:13], s[18:19], v[160:161]
	s_mov_b32 s60, s9
	s_mov_b32 s61, s40
	v_mov_b32_e32 v74, v162
	s_mov_b32 s41, s9
	v_pk_mul_f32 v[164:165], v[34:35], s[60:61]
	v_pk_add_f32 v[2:3], v[2:3], v[74:75]
	v_pk_fma_f32 v[74:75], v[14:15], s[40:41], v[164:165] neg_lo:[0,0,1] neg_hi:[0,0,1]
	v_pk_fma_f32 v[166:167], v[14:15], s[40:41], v[164:165]
	v_pk_mul_f32 v[168:169], v[36:37], s[38:39]
	v_mov_b32_e32 v74, v166
	v_pk_add_f32 v[2:3], v[2:3], v[74:75]
	v_pk_fma_f32 v[74:75], v[16:17], s[24:25], v[168:169] neg_lo:[0,0,1] neg_hi:[0,0,1]
	v_pk_fma_f32 v[170:171], v[16:17], s[24:25], v[168:169]
	s_nop 0
	v_mov_b32_e32 v74, v170
	v_pk_add_f32 v[2:3], v[2:3], v[74:75]
	s_and_saveexec_b64 s[26:27], s[0:1]
	s_cbranch_execz .LBB0_13
; %bb.12:
	v_pk_add_f32 v[38:39], v[0:1], v[38:39]
	v_pk_mul_f32 v[74:75], v[68:69], s[22:23] op_sel_hi:[1,0]
	v_pk_add_f32 v[38:39], v[38:39], v[40:41]
	s_mov_b32 s0, s23
	v_pk_add_f32 v[38:39], v[38:39], v[42:43]
	s_movk_i32 s1, 0x88
	v_pk_add_f32 v[38:39], v[38:39], v[48:49]
	v_pk_fma_f32 v[40:41], v[60:61], s[0:1], v[74:75] op_sel:[0,0,1] op_sel_hi:[1,0,0]
	v_pk_add_f32 v[38:39], v[38:39], v[50:51]
	v_mov_b32_e32 v43, v41
	v_pk_add_f32 v[38:39], v[38:39], v[46:47]
	s_mov_b32 s67, 0xbf2c7751
	v_pk_add_f32 v[38:39], v[38:39], v[44:45]
	s_mov_b32 s66, s25
	v_pk_add_f32 v[38:39], v[38:39], v[70:71]
	v_mad_u32_u24 v142, v172, s1, 0
	v_pk_add_f32 v[38:39], v[38:39], v[72:73]
	s_mov_b32 s63, 0xbf763a35
	v_pk_add_f32 v[38:39], v[66:67], v[38:39]
	s_mov_b32 s62, s13
	;; [unrolled: 2-line block ×6, first 2 shown]
	v_pk_add_f32 v[38:39], v[54:55], v[38:39]
	v_pk_mul_f32 v[80:81], v[18:19], s[52:53]
	v_pk_add_f32 v[76:77], v[52:53], v[38:39]
	v_pk_fma_f32 v[38:39], v[60:61], s[0:1], v[74:75] op_sel:[0,0,1] op_sel_hi:[1,0,0] neg_lo:[0,0,1] neg_hi:[0,0,1]
	s_mov_b32 s0, s67
	v_mov_b32_e32 v42, v38
	v_pk_add_f32 v[46:47], v[0:1], v[42:43]
	v_pk_mul_f32 v[42:43], v[18:19], s[66:67]
	s_mov_b32 s1, s25
	v_pk_fma_f32 v[48:49], v[4:5], s[0:1], v[42:43] neg_lo:[1,0,0] neg_hi:[1,0,0]
	v_pk_fma_f32 v[44:45], v[4:5], s[0:1], v[42:43]
	v_pk_fma_f32 v[84:85], v[4:5], s[14:15], v[80:81] neg_lo:[1,0,0] neg_hi:[1,0,0]
	v_mov_b32_e32 v49, v45
	v_pk_add_f32 v[50:51], v[46:47], v[48:49]
	v_pk_mul_f32 v[48:49], v[20:21], s[58:59]
	s_mov_b32 s69, 0x3f06c442
	v_pk_fma_f32 v[52:53], v[6:7], s[6:7], v[48:49] neg_lo:[1,0,0] neg_hi:[1,0,0]
	v_pk_fma_f32 v[46:47], v[6:7], s[6:7], v[48:49]
	s_mov_b32 s68, s19
	v_mov_b32_e32 v53, v47
	v_pk_add_f32 v[54:55], v[50:51], v[52:53]
	v_pk_mul_f32 v[52:53], v[22:23], s[52:53]
	s_mov_b32 s65, 0x3f65296c
	v_pk_fma_f32 v[56:57], v[8:9], s[14:15], v[52:53] neg_lo:[1,0,0] neg_hi:[1,0,0]
	v_pk_fma_f32 v[50:51], v[8:9], s[14:15], v[52:53]
	s_mov_b32 s64, s7
	v_mov_b32_e32 v57, v51
	v_pk_add_f32 v[58:59], v[54:55], v[56:57]
	v_pk_mul_f32 v[54:55], v[24:25], s[62:63]
	s_mov_b32 s70, s63
	v_pk_fma_f32 v[62:63], v[10:11], s[30:31], v[54:55] neg_lo:[1,0,0] neg_hi:[1,0,0]
	v_pk_fma_f32 v[56:57], v[10:11], s[30:31], v[54:55]
	v_pk_mul_f32 v[182:183], v[18:19], s[64:65]
	v_mov_b32_e32 v63, v57
	v_pk_add_f32 v[64:65], v[58:59], v[62:63]
	v_pk_mul_f32 v[62:63], v[26:27], s[34:35]
	v_mov_b32_e32 v41, v39
	v_pk_fma_f32 v[66:67], v[12:13], s[8:9], v[62:63] neg_lo:[1,0,0] neg_hi:[1,0,0]
	v_pk_fma_f32 v[58:59], v[12:13], s[8:9], v[62:63]
	s_nop 0
	v_mov_b32_e32 v67, v59
	v_pk_add_f32 v[70:71], v[64:65], v[66:67]
	v_pk_mul_f32 v[66:67], v[34:35], s[42:43]
	s_nop 0
	v_pk_fma_f32 v[72:73], v[14:15], s[18:19], v[66:67] neg_lo:[1,0,0] neg_hi:[1,0,0]
	v_pk_fma_f32 v[64:65], v[14:15], s[18:19], v[66:67]
	s_nop 0
	v_mov_b32_e32 v73, v65
	v_pk_add_f32 v[74:75], v[70:71], v[72:73]
	v_pk_mul_f32 v[72:73], v[36:37], s[54:55]
	s_nop 0
	v_pk_fma_f32 v[78:79], v[16:17], s[20:21], v[72:73] neg_lo:[1,0,0] neg_hi:[1,0,0]
	v_pk_fma_f32 v[70:71], v[16:17], s[20:21], v[72:73]
	s_nop 0
	v_mov_b32_e32 v79, v71
	v_pk_add_f32 v[74:75], v[74:75], v[78:79]
	ds_write2_b64 v142, v[76:77], v[74:75] offset1:1
	v_pk_mul_f32 v[76:77], v[68:69], s[46:47] op_sel_hi:[1,0]
	s_mov_b32 s46, s65
	v_pk_fma_f32 v[74:75], v[60:61], s[44:45], v[76:77] op_sel:[0,0,1] op_sel_hi:[1,0,0] neg_lo:[0,0,1] neg_hi:[0,0,1]
	v_pk_fma_f32 v[76:77], v[60:61], s[44:45], v[76:77] op_sel:[0,0,1] op_sel_hi:[1,0,0]
	v_mov_b32_e32 v78, v74
	v_mov_b32_e32 v79, v77
	v_pk_add_f32 v[82:83], v[0:1], v[78:79]
	v_pk_fma_f32 v[78:79], v[4:5], s[14:15], v[80:81]
	s_mov_b32 s44, s69
	v_mov_b32_e32 v85, v79
	v_pk_add_f32 v[86:87], v[82:83], v[84:85]
	v_pk_mul_f32 v[84:85], v[20:21], s[34:35]
	s_mov_b32 s45, s19
	v_pk_fma_f32 v[88:89], v[6:7], s[8:9], v[84:85] neg_lo:[1,0,0] neg_hi:[1,0,0]
	v_pk_fma_f32 v[82:83], v[6:7], s[8:9], v[84:85]
	s_mov_b32 s47, s7
	v_mov_b32_e32 v89, v83
	v_pk_add_f32 v[90:91], v[86:87], v[88:89]
	v_pk_mul_f32 v[88:89], v[22:23], s[54:55]
	v_pk_fma_f32 v[184:185], v[4:5], s[46:47], v[182:183] neg_lo:[1,0,0] neg_hi:[1,0,0]
	v_pk_fma_f32 v[92:93], v[8:9], s[20:21], v[88:89] neg_lo:[1,0,0] neg_hi:[1,0,0]
	v_pk_fma_f32 v[86:87], v[8:9], s[20:21], v[88:89]
	v_pk_fma_f32 v[186:187], v[4:5], s[46:47], v[182:183]
	v_mov_b32_e32 v93, v87
	v_pk_add_f32 v[94:95], v[90:91], v[92:93]
	v_pk_mul_f32 v[92:93], v[24:25], s[68:69]
	v_mov_b32_e32 v185, v187
	v_pk_fma_f32 v[96:97], v[10:11], s[44:45], v[92:93] neg_lo:[1,0,0] neg_hi:[1,0,0]
	v_pk_fma_f32 v[90:91], v[10:11], s[44:45], v[92:93]
	v_mov_b32_e32 v77, v75
	v_mov_b32_e32 v97, v91
	v_pk_add_f32 v[98:99], v[94:95], v[96:97]
	v_pk_mul_f32 v[96:97], v[26:27], s[56:57]
	s_nop 0
	v_pk_fma_f32 v[100:101], v[12:13], s[12:13], v[96:97] neg_lo:[1,0,0] neg_hi:[1,0,0]
	v_pk_fma_f32 v[94:95], v[12:13], s[12:13], v[96:97]
	s_nop 0
	v_mov_b32_e32 v101, v95
	v_pk_add_f32 v[102:103], v[98:99], v[100:101]
	v_pk_mul_f32 v[100:101], v[34:35], s[64:65]
	s_nop 0
	v_pk_fma_f32 v[104:105], v[14:15], s[46:47], v[100:101] neg_lo:[1,0,0] neg_hi:[1,0,0]
	v_pk_fma_f32 v[98:99], v[14:15], s[46:47], v[100:101]
	s_nop 0
	;; [unrolled: 7-line block ×3, first 2 shown]
	v_mov_b32_e32 v177, v103
	v_pk_add_f32 v[174:175], v[174:175], v[176:177]
	v_pk_mul_f32 v[176:177], v[106:107], s[6:7]
	v_pk_mul_f32 v[106:107], v[106:107], s[14:15]
	v_pk_add_f32 v[108:109], v[108:109], v[176:177] neg_lo:[0,1] neg_hi:[0,1]
	v_pk_add_f32 v[106:107], v[128:129], v[106:107] neg_lo:[0,1] neg_hi:[0,1]
	v_mov_b32_e32 v109, v111
	v_pk_mul_f32 v[110:111], v[4:5], s[8:9]
	v_pk_add_f32 v[108:109], v[0:1], v[108:109]
	v_pk_add_f32 v[110:111], v[112:113], v[110:111] neg_lo:[0,1] neg_hi:[0,1]
	v_pk_mul_f32 v[112:113], v[14:15], s[14:15]
	v_mov_b32_e32 v111, v115
	v_pk_add_f32 v[108:109], v[108:109], v[110:111]
	v_pk_mul_f32 v[110:111], v[6:7], s[36:37]
	v_pk_mul_f32 v[114:115], v[4:5], s[20:21]
	v_pk_add_f32 v[110:111], v[116:117], v[110:111] neg_lo:[0,1] neg_hi:[0,1]
	v_pk_add_f32 v[112:113], v[138:139], v[112:113] neg_lo:[0,1] neg_hi:[0,1]
	v_mov_b32_e32 v111, v119
	v_pk_add_f32 v[108:109], v[108:109], v[110:111]
	v_pk_mul_f32 v[110:111], v[8:9], s[12:13]
	v_mov_b32_e32 v107, v131
	v_pk_add_f32 v[110:111], v[120:121], v[110:111] neg_lo:[0,1] neg_hi:[0,1]
	v_pk_add_f32 v[114:115], v[140:141], v[114:115] neg_lo:[0,1] neg_hi:[0,1]
	v_mov_b32_e32 v111, v123
	v_pk_add_f32 v[108:109], v[108:109], v[110:111]
	v_pk_mul_f32 v[110:111], v[10:11], s[24:25]
	v_mov_b32_e32 v113, v137
	v_pk_add_f32 v[110:111], v[126:127], v[110:111] neg_lo:[0,1] neg_hi:[0,1]
	v_pk_mul_f32 v[116:117], v[6:7], s[12:13]
	v_mov_b32_e32 v111, v125
	v_pk_add_f32 v[108:109], v[108:109], v[110:111]
	v_pk_mul_f32 v[110:111], v[12:13], s[22:23]
	v_pk_add_f32 v[106:107], v[0:1], v[106:107]
	v_pk_add_f32 v[110:111], v[134:135], v[110:111] neg_lo:[0,1] neg_hi:[0,1]
	v_mov_b32_e32 v115, v143
	v_mov_b32_e32 v111, v133
	v_pk_add_f32 v[108:109], v[108:109], v[110:111]
	v_pk_add_f32 v[106:107], v[106:107], v[114:115]
	;; [unrolled: 1-line block ×3, first 2 shown]
	v_pk_mul_f32 v[112:113], v[8:9], s[28:29]
	v_pk_add_f32 v[114:115], v[148:149], v[116:117] neg_lo:[0,1] neg_hi:[0,1]
	v_pk_add_f32 v[112:113], v[152:153], v[112:113] neg_lo:[0,1] neg_hi:[0,1]
	v_mov_b32_e32 v115, v151
	v_pk_mul_f32 v[110:111], v[16:17], s[18:19]
	v_pk_mul_f32 v[118:119], v[10:11], s[6:7]
	v_pk_add_f32 v[106:107], v[106:107], v[114:115]
	v_mov_b32_e32 v113, v155
	v_pk_add_f32 v[110:111], v[146:147], v[110:111] neg_lo:[0,1] neg_hi:[0,1]
	v_pk_add_f32 v[106:107], v[106:107], v[112:113]
	v_pk_add_f32 v[112:113], v[156:157], v[118:119] neg_lo:[0,1] neg_hi:[0,1]
	v_mov_b32_e32 v111, v145
	v_pk_mul_f32 v[120:121], v[12:13], s[18:19]
	v_mov_b32_e32 v113, v159
	v_pk_add_f32 v[108:109], v[108:109], v[110:111]
	v_pk_mul_f32 v[110:111], v[14:15], s[40:41]
	v_pk_add_f32 v[106:107], v[106:107], v[112:113]
	v_pk_add_f32 v[112:113], v[160:161], v[120:121] neg_lo:[0,1] neg_hi:[0,1]
	ds_write2_b64 v142, v[174:175], v[108:109] offset0:2 offset1:3
	v_pk_mul_f32 v[108:109], v[16:17], s[24:25]
	v_mov_b32_e32 v113, v163
	v_pk_add_f32 v[110:111], v[164:165], v[110:111] neg_lo:[0,1] neg_hi:[0,1]
	v_pk_add_f32 v[106:107], v[106:107], v[112:113]
	v_mov_b32_e32 v111, v167
	v_pk_add_f32 v[108:109], v[168:169], v[108:109] neg_lo:[0,1] neg_hi:[0,1]
	v_pk_add_f32 v[106:107], v[106:107], v[110:111]
	v_mov_b32_e32 v109, v171
	v_pk_add_f32 v[138:139], v[106:107], v[108:109]
	s_mov_b32 s36, s13
	v_pk_mul_f32 v[108:109], v[68:69], s[70:71] op_sel_hi:[1,0]
	v_pk_mul_f32 v[112:113], v[18:19], s[68:69]
	v_pk_fma_f32 v[106:107], v[60:61], s[36:37], v[108:109] op_sel:[0,0,1] op_sel_hi:[1,0,0] neg_lo:[0,0,1] neg_hi:[0,0,1]
	v_pk_fma_f32 v[108:109], v[60:61], s[36:37], v[108:109] op_sel:[0,0,1] op_sel_hi:[1,0,0]
	v_mov_b32_e32 v110, v106
	v_mov_b32_e32 v111, v109
	v_pk_add_f32 v[114:115], v[0:1], v[110:111]
	v_pk_fma_f32 v[116:117], v[4:5], s[44:45], v[112:113] neg_lo:[1,0,0] neg_hi:[1,0,0]
	v_pk_fma_f32 v[110:111], v[4:5], s[44:45], v[112:113]
	s_mov_b32 s69, 0x3f7ee86f
	v_mov_b32_e32 v117, v111
	v_pk_add_f32 v[118:119], v[114:115], v[116:117]
	v_pk_mul_f32 v[116:117], v[20:21], s[38:39]
	s_mov_b32 s68, s15
	v_pk_fma_f32 v[120:121], v[6:7], s[24:25], v[116:117] neg_lo:[1,0,0] neg_hi:[1,0,0]
	v_pk_fma_f32 v[114:115], v[6:7], s[24:25], v[116:117]
	s_mov_b32 s36, s9
	v_mov_b32_e32 v121, v115
	v_pk_add_f32 v[122:123], v[118:119], v[120:121]
	v_pk_mul_f32 v[120:121], v[22:23], s[58:59]
	s_mov_b32 s58, s69
	v_pk_fma_f32 v[124:125], v[8:9], s[6:7], v[120:121] neg_lo:[1,0,0] neg_hi:[1,0,0]
	v_pk_fma_f32 v[118:119], v[8:9], s[6:7], v[120:121]
	s_mov_b32 s59, s15
	v_mov_b32_e32 v125, v119
	v_pk_add_f32 v[126:127], v[122:123], v[124:125]
	v_pk_mul_f32 v[124:125], v[24:25], s[54:55]
	v_pk_mul_f32 v[146:147], v[18:19], s[56:57]
	v_pk_fma_f32 v[128:129], v[10:11], s[20:21], v[124:125] neg_lo:[1,0,0] neg_hi:[1,0,0]
	v_pk_fma_f32 v[122:123], v[10:11], s[20:21], v[124:125]
	v_pk_fma_f32 v[148:149], v[4:5], s[12:13], v[146:147] neg_lo:[1,0,0] neg_hi:[1,0,0]
	v_mov_b32_e32 v129, v123
	v_pk_add_f32 v[130:131], v[126:127], v[128:129]
	v_pk_mul_f32 v[126:127], v[26:27], s[68:69]
	v_pk_fma_f32 v[150:151], v[4:5], s[12:13], v[146:147]
	v_pk_fma_f32 v[132:133], v[12:13], s[58:59], v[126:127] neg_lo:[1,0,0] neg_hi:[1,0,0]
	v_pk_fma_f32 v[128:129], v[12:13], s[58:59], v[126:127]
	v_mov_b32_e32 v149, v151
	v_mov_b32_e32 v133, v129
	v_pk_add_f32 v[134:135], v[130:131], v[132:133]
	v_pk_mul_f32 v[132:133], v[34:35], s[48:49]
	v_pk_mul_f32 v[18:19], v[18:19], s[50:51]
	v_pk_fma_f32 v[136:137], v[14:15], s[22:23], v[132:133] neg_lo:[1,0,0] neg_hi:[1,0,0]
	v_pk_fma_f32 v[130:131], v[14:15], s[22:23], v[132:133]
	v_mov_b32_e32 v109, v107
	v_mov_b32_e32 v137, v131
	v_pk_add_f32 v[140:141], v[134:135], v[136:137]
	v_pk_mul_f32 v[136:137], v[36:37], s[34:35]
	s_nop 0
	v_pk_fma_f32 v[144:145], v[16:17], s[8:9], v[136:137] neg_lo:[1,0,0] neg_hi:[1,0,0]
	v_pk_fma_f32 v[134:135], v[16:17], s[8:9], v[136:137]
	s_nop 0
	v_mov_b32_e32 v145, v135
	v_pk_add_f32 v[140:141], v[140:141], v[144:145]
	ds_write2_b64 v142, v[138:139], v[140:141] offset0:4 offset1:5
	v_pk_mul_f32 v[138:139], v[68:69], s[8:9] op_sel_hi:[1,0]
	s_nop 0
	v_pk_fma_f32 v[140:141], v[60:61], s[36:37], v[138:139] op_sel:[0,0,1] op_sel_hi:[1,0,0] neg_lo:[0,0,1] neg_hi:[0,0,1]
	v_pk_fma_f32 v[138:139], v[60:61], s[36:37], v[138:139] op_sel:[0,0,1] op_sel_hi:[1,0,0]
	v_mov_b32_e32 v144, v140
	v_mov_b32_e32 v145, v139
	v_pk_add_f32 v[144:145], v[0:1], v[144:145]
	s_mov_b32 s36, s19
	v_pk_add_f32 v[144:145], v[144:145], v[148:149]
	v_pk_mul_f32 v[148:149], v[20:21], s[48:49]
	v_mov_b32_e32 v139, v141
	v_pk_fma_f32 v[152:153], v[6:7], s[22:23], v[148:149] neg_lo:[1,0,0] neg_hi:[1,0,0]
	v_pk_fma_f32 v[154:155], v[6:7], s[22:23], v[148:149]
	s_nop 0
	v_mov_b32_e32 v153, v155
	v_pk_add_f32 v[144:145], v[144:145], v[152:153]
	v_pk_mul_f32 v[152:153], v[22:23], s[42:43]
	s_nop 0
	v_pk_fma_f32 v[156:157], v[8:9], s[18:19], v[152:153] neg_lo:[1,0,0] neg_hi:[1,0,0]
	v_pk_fma_f32 v[158:159], v[8:9], s[18:19], v[152:153]
	s_nop 0
	v_mov_b32_e32 v157, v159
	v_pk_add_f32 v[144:145], v[144:145], v[156:157]
	v_pk_mul_f32 v[156:157], v[24:25], s[68:69]
	s_nop 0
	;; [unrolled: 7-line block ×5, first 2 shown]
	v_pk_fma_f32 v[174:175], v[16:17], s[46:47], v[168:169] neg_lo:[1,0,0] neg_hi:[1,0,0]
	v_pk_fma_f32 v[176:177], v[16:17], s[46:47], v[168:169]
	s_nop 0
	v_mov_b32_e32 v175, v177
	v_pk_add_f32 v[144:145], v[144:145], v[174:175]
	v_pk_mul_f32 v[174:175], v[68:69], s[18:19] op_sel_hi:[1,0]
	v_pk_mul_f32 v[68:69], v[68:69], s[20:21] op_sel_hi:[1,0]
	v_pk_fma_f32 v[178:179], v[60:61], s[36:37], v[174:175] op_sel:[0,0,1] op_sel_hi:[1,0,0] neg_lo:[0,0,1] neg_hi:[0,0,1]
	v_pk_fma_f32 v[174:175], v[60:61], s[36:37], v[174:175] op_sel:[0,0,1] op_sel_hi:[1,0,0]
	v_mov_b32_e32 v180, v178
	v_mov_b32_e32 v181, v175
	v_pk_add_f32 v[180:181], v[0:1], v[180:181]
	s_mov_b32 s36, s37
	v_pk_add_f32 v[180:181], v[180:181], v[184:185]
	v_pk_mul_f32 v[184:185], v[20:21], s[52:53]
	v_pk_mul_f32 v[20:21], v[20:21], s[42:43]
	v_pk_fma_f32 v[188:189], v[6:7], s[14:15], v[184:185] neg_lo:[1,0,0] neg_hi:[1,0,0]
	v_pk_fma_f32 v[190:191], v[6:7], s[14:15], v[184:185]
	v_pk_fma_f32 v[212:213], v[6:7], s[18:19], v[20:21]
	v_mov_b32_e32 v189, v191
	v_pk_add_f32 v[180:181], v[180:181], v[188:189]
	v_pk_mul_f32 v[188:189], v[22:23], s[60:61]
	v_pk_mul_f32 v[22:23], v[22:23], s[38:39]
	v_pk_fma_f32 v[192:193], v[8:9], s[40:41], v[188:189] neg_lo:[1,0,0] neg_hi:[1,0,0]
	v_pk_fma_f32 v[194:195], v[8:9], s[40:41], v[188:189]
	v_pk_fma_f32 v[214:215], v[8:9], s[24:25], v[22:23]
	v_mov_b32_e32 v193, v195
	v_pk_add_f32 v[180:181], v[180:181], v[192:193]
	v_pk_mul_f32 v[192:193], v[24:25], s[48:49]
	v_pk_mul_f32 v[24:25], v[24:25], s[34:35]
	v_pk_fma_f32 v[196:197], v[10:11], s[22:23], v[192:193] neg_lo:[1,0,0] neg_hi:[1,0,0]
	v_pk_fma_f32 v[198:199], v[10:11], s[22:23], v[192:193]
	v_pk_fma_f32 v[216:217], v[10:11], s[8:9], v[24:25]
	v_mov_b32_e32 v197, v199
	v_pk_add_f32 v[180:181], v[180:181], v[196:197]
	v_pk_mul_f32 v[196:197], v[26:27], s[54:55]
	v_pk_mul_f32 v[26:27], v[26:27], s[64:65]
	v_pk_fma_f32 v[200:201], v[12:13], s[20:21], v[196:197] neg_lo:[1,0,0] neg_hi:[1,0,0]
	v_pk_fma_f32 v[202:203], v[12:13], s[20:21], v[196:197]
	v_pk_fma_f32 v[218:219], v[12:13], s[46:47], v[26:27]
	v_mov_b32_e32 v201, v203
	v_pk_add_f32 v[180:181], v[180:181], v[200:201]
	v_pk_mul_f32 v[200:201], v[34:35], s[38:39]
	v_pk_mul_f32 v[34:35], v[34:35], s[62:63]
	v_pk_fma_f32 v[204:205], v[14:15], s[24:25], v[200:201] neg_lo:[1,0,0] neg_hi:[1,0,0]
	v_pk_fma_f32 v[206:207], v[14:15], s[24:25], v[200:201]
	v_pk_fma_f32 v[220:221], v[14:15], s[30:31], v[34:35]
	v_mov_b32_e32 v205, v207
	v_pk_add_f32 v[180:181], v[180:181], v[204:205]
	v_pk_mul_f32 v[204:205], v[36:37], s[62:63]
	v_pk_mul_f32 v[36:37], v[36:37], s[68:69]
	v_pk_fma_f32 v[208:209], v[16:17], s[30:31], v[204:205] neg_lo:[1,0,0] neg_hi:[1,0,0]
	v_pk_fma_f32 v[210:211], v[16:17], s[30:31], v[204:205]
	v_pk_fma_f32 v[222:223], v[16:17], s[58:59], v[36:37]
	v_mov_b32_e32 v209, v211
	v_pk_add_f32 v[180:181], v[180:181], v[208:209]
	ds_write2_b64 v142, v[144:145], v[180:181] offset0:6 offset1:7
	v_pk_fma_f32 v[144:145], v[60:61], s[36:37], v[68:69] op_sel:[0,0,1] op_sel_hi:[1,0,0] neg_lo:[0,0,1] neg_hi:[0,0,1]
	v_pk_fma_f32 v[60:61], v[60:61], s[36:37], v[68:69] op_sel:[0,0,1] op_sel_hi:[1,0,0]
	v_mov_b32_e32 v68, v144
	v_mov_b32_e32 v69, v61
	v_pk_fma_f32 v[180:181], v[4:5], s[28:29], v[18:19] neg_lo:[1,0,0] neg_hi:[1,0,0]
	v_pk_fma_f32 v[208:209], v[4:5], s[28:29], v[18:19]
	v_pk_add_f32 v[68:69], v[0:1], v[68:69]
	v_mov_b32_e32 v181, v209
	v_pk_add_f32 v[68:69], v[68:69], v[180:181]
	v_pk_fma_f32 v[180:181], v[6:7], s[18:19], v[20:21] neg_lo:[1,0,0] neg_hi:[1,0,0]
	v_pk_fma_f32 v[20:21], v[6:7], s[18:19], v[20:21] neg_lo:[0,0,1] neg_hi:[0,0,1]
	v_mov_b32_e32 v181, v213
	v_pk_add_f32 v[68:69], v[68:69], v[180:181]
	v_pk_fma_f32 v[180:181], v[8:9], s[24:25], v[22:23] neg_lo:[1,0,0] neg_hi:[1,0,0]
	v_mov_b32_e32 v213, v21
	v_mov_b32_e32 v181, v215
	v_pk_add_f32 v[68:69], v[68:69], v[180:181]
	v_pk_fma_f32 v[180:181], v[10:11], s[8:9], v[24:25] neg_lo:[1,0,0] neg_hi:[1,0,0]
	v_pk_fma_f32 v[20:21], v[8:9], s[24:25], v[22:23] neg_lo:[0,0,1] neg_hi:[0,0,1]
	v_mov_b32_e32 v181, v217
	v_pk_add_f32 v[68:69], v[68:69], v[180:181]
	v_pk_fma_f32 v[180:181], v[12:13], s[46:47], v[26:27] neg_lo:[1,0,0] neg_hi:[1,0,0]
	v_mov_b32_e32 v61, v145
	v_mov_b32_e32 v181, v219
	v_pk_fma_f32 v[18:19], v[4:5], s[28:29], v[18:19] neg_lo:[0,0,1] neg_hi:[0,0,1]
	v_mov_b32_e32 v215, v21
	v_pk_fma_f32 v[20:21], v[10:11], s[8:9], v[24:25] neg_lo:[0,0,1] neg_hi:[0,0,1]
	v_pk_add_f32 v[68:69], v[68:69], v[180:181]
	v_pk_fma_f32 v[180:181], v[14:15], s[30:31], v[34:35] neg_lo:[1,0,0] neg_hi:[1,0,0]
	v_mov_b32_e32 v209, v19
	v_pk_add_f32 v[18:19], v[0:1], v[60:61]
	v_mov_b32_e32 v217, v21
	v_pk_fma_f32 v[20:21], v[12:13], s[46:47], v[26:27] neg_lo:[0,0,1] neg_hi:[0,0,1]
	v_mov_b32_e32 v181, v221
	v_pk_add_f32 v[18:19], v[18:19], v[208:209]
	v_mov_b32_e32 v219, v21
	v_pk_fma_f32 v[20:21], v[14:15], s[30:31], v[34:35] neg_lo:[0,0,1] neg_hi:[0,0,1]
	v_pk_add_f32 v[68:69], v[68:69], v[180:181]
	v_pk_fma_f32 v[180:181], v[16:17], s[58:59], v[36:37] neg_lo:[1,0,0] neg_hi:[1,0,0]
	v_pk_add_f32 v[18:19], v[18:19], v[212:213]
	v_mov_b32_e32 v221, v21
	v_pk_fma_f32 v[20:21], v[16:17], s[58:59], v[36:37] neg_lo:[0,0,1] neg_hi:[0,0,1]
	v_mov_b32_e32 v181, v223
	v_pk_add_f32 v[18:19], v[18:19], v[214:215]
	v_mov_b32_e32 v223, v21
	v_pk_fma_f32 v[20:21], v[6:7], s[14:15], v[184:185] neg_lo:[0,0,1] neg_hi:[0,0,1]
	v_pk_add_f32 v[18:19], v[18:19], v[216:217]
	v_mov_b32_e32 v191, v21
	v_pk_fma_f32 v[20:21], v[8:9], s[40:41], v[188:189] neg_lo:[0,0,1] neg_hi:[0,0,1]
	;; [unrolled: 3-line block ×4, first 2 shown]
	v_pk_add_f32 v[68:69], v[68:69], v[180:181]
	v_pk_add_f32 v[18:19], v[18:19], v[222:223]
	v_mov_b32_e32 v203, v21
	v_pk_fma_f32 v[20:21], v[14:15], s[24:25], v[200:201] neg_lo:[0,0,1] neg_hi:[0,0,1]
	ds_write2_b64 v142, v[68:69], v[18:19] offset0:8 offset1:9
	v_mov_b32_e32 v175, v179
	v_pk_fma_f32 v[18:19], v[4:5], s[46:47], v[182:183] neg_lo:[0,0,1] neg_hi:[0,0,1]
	v_mov_b32_e32 v207, v21
	v_pk_fma_f32 v[20:21], v[16:17], s[30:31], v[204:205] neg_lo:[0,0,1] neg_hi:[0,0,1]
	v_pk_fma_f32 v[22:23], v[4:5], s[12:13], v[146:147] neg_lo:[0,0,1] neg_hi:[0,0,1]
	v_mov_b32_e32 v187, v19
	v_pk_add_f32 v[18:19], v[0:1], v[174:175]
	v_mov_b32_e32 v211, v21
	v_pk_add_f32 v[20:21], v[0:1], v[138:139]
	v_mov_b32_e32 v151, v23
	v_pk_fma_f32 v[22:23], v[6:7], s[22:23], v[148:149] neg_lo:[0,0,1] neg_hi:[0,0,1]
	v_pk_add_f32 v[18:19], v[18:19], v[186:187]
	v_pk_add_f32 v[20:21], v[20:21], v[150:151]
	v_mov_b32_e32 v155, v23
	v_pk_fma_f32 v[22:23], v[8:9], s[18:19], v[152:153] neg_lo:[0,0,1] neg_hi:[0,0,1]
	v_pk_add_f32 v[18:19], v[18:19], v[190:191]
	;; [unrolled: 4-line block ×6, first 2 shown]
	v_pk_add_f32 v[20:21], v[20:21], v[170:171]
	v_mov_b32_e32 v177, v23
	v_pk_add_f32 v[18:19], v[18:19], v[210:211]
	v_pk_add_f32 v[20:21], v[20:21], v[176:177]
	ds_write2_b64 v142, v[18:19], v[20:21] offset0:10 offset1:11
	v_pk_fma_f32 v[20:21], v[4:5], s[44:45], v[112:113] neg_lo:[0,0,1] neg_hi:[0,0,1]
	v_pk_add_f32 v[18:19], v[0:1], v[108:109]
	v_mov_b32_e32 v111, v21
	v_pk_fma_f32 v[20:21], v[6:7], s[24:25], v[116:117] neg_lo:[0,0,1] neg_hi:[0,0,1]
	v_pk_add_f32 v[18:19], v[18:19], v[110:111]
	v_mov_b32_e32 v115, v21
	;; [unrolled: 3-line block ×7, first 2 shown]
	v_pk_add_f32 v[18:19], v[18:19], v[134:135]
	v_pk_fma_f32 v[20:21], v[4:5], s[14:15], v[80:81] neg_lo:[0,0,1] neg_hi:[0,0,1]
	v_pk_fma_f32 v[4:5], v[4:5], s[0:1], v[42:43] neg_lo:[0,0,1] neg_hi:[0,0,1]
	ds_write2_b64 v142, v[18:19], v[2:3] offset0:12 offset1:13
	v_pk_add_f32 v[18:19], v[0:1], v[76:77]
	v_mov_b32_e32 v79, v21
	v_pk_fma_f32 v[20:21], v[6:7], s[8:9], v[84:85] neg_lo:[0,0,1] neg_hi:[0,0,1]
	v_pk_add_f32 v[0:1], v[0:1], v[40:41]
	v_mov_b32_e32 v45, v5
	v_pk_fma_f32 v[4:5], v[6:7], s[6:7], v[48:49] neg_lo:[0,0,1] neg_hi:[0,0,1]
	;; [unrolled: 3-line block ×12, first 2 shown]
	v_pk_add_f32 v[18:19], v[18:19], v[98:99]
	v_mov_b32_e32 v103, v21
	v_pk_add_f32 v[0:1], v[0:1], v[64:65]
	v_mov_b32_e32 v71, v5
	v_pk_add_f32 v[18:19], v[18:19], v[102:103]
	v_pk_add_f32 v[0:1], v[0:1], v[70:71]
	ds_write2_b64 v142, v[32:33], v[18:19] offset0:14 offset1:15
	ds_write_b64 v142, v[0:1] offset:128
.LBB0_13:
	s_or_b64 exec, exec, s[26:27]
	s_movk_i32 s0, 0xf1
	v_mul_lo_u16_sdwa v0, v172, s0 dst_sel:DWORD dst_unused:UNUSED_PAD src0_sel:BYTE_0 src1_sel:DWORD
	v_lshrrev_b16_e32 v0, 12, v0
	v_mul_lo_u16_e32 v1, 17, v0
	v_sub_u16_e32 v55, v172, v1
	v_mov_b32_e32 v1, 12
	v_mul_u32_u24_sdwa v1, v55, v1 dst_sel:DWORD dst_unused:UNUSED_PAD src0_sel:BYTE_0 src1_sel:DWORD
	v_lshlrev_b32_e32 v1, 3, v1
	s_load_dwordx2 s[2:3], s[2:3], 0x0
	s_waitcnt lgkmcnt(0)
	; wave barrier
	s_waitcnt lgkmcnt(0)
	global_load_dwordx4 v[8:11], v1, s[4:5]
	global_load_dwordx4 v[12:15], v1, s[4:5] offset:16
	global_load_dwordx4 v[16:19], v1, s[4:5] offset:32
	;; [unrolled: 1-line block ×5, first 2 shown]
	v_lshl_add_u32 v54, v172, 3, 0
	v_add_u32_e32 v148, 0x800, v54
	ds_read2_b64 v[4:7], v54 offset1:51
	ds_read2_b64 v[38:41], v54 offset0:102 offset1:153
	ds_read2_b64 v[42:45], v54 offset0:204 offset1:255
	;; [unrolled: 1-line block ×4, first 2 shown]
	v_mul_u32_u24_e32 v75, 0x6e8, v0
	s_mov_b32 s0, 0xbf6f5d39
	s_mov_b32 s14, 0xbeb58ec6
	;; [unrolled: 1-line block ×6, first 2 shown]
	v_mov_b32_e32 v74, 3
	s_mov_b32 s20, 0xbeedf032
	s_mov_b32 s24, 0x3f62ad3f
	;; [unrolled: 1-line block ×10, first 2 shown]
	s_waitcnt vmcnt(5) lgkmcnt(4)
	v_mul_f32_e32 v0, v9, v7
	v_mul_f32_e32 v76, v9, v6
	s_waitcnt vmcnt(4)
	v_mov_b32_e32 v58, v15
	v_mov_b32_e32 v59, v14
	s_waitcnt lgkmcnt(3)
	v_mul_f32_e32 v9, v11, v39
	v_mul_f32_e32 v1, v11, v38
	;; [unrolled: 1-line block ×4, first 2 shown]
	s_waitcnt vmcnt(3) lgkmcnt(2)
	v_pk_mul_f32 v[60:61], v[44:45], v[16:17] op_sel:[0,1]
	v_mov_b32_e32 v62, v19
	s_waitcnt vmcnt(2) lgkmcnt(0)
	v_pk_mul_f32 v[64:65], v[52:53], v[20:21] op_sel:[0,1]
	v_mov_b32_e32 v66, v23
	s_waitcnt vmcnt(1)
	v_pk_mul_f32 v[68:69], v[48:49], v[24:25] op_sel:[0,1]
	v_fma_f32 v77, v8, v6, -v0
	v_fmac_f32_e32 v76, v8, v7
	v_pk_mul_f32 v[6:7], v[58:59], v[42:43] op_sel:[0,1]
	v_fma_f32 v0, v10, v38, -v9
	v_fmac_f32_e32 v1, v10, v39
	v_fma_f32 v56, v12, v40, -v11
	v_fmac_f32_e32 v57, v12, v41
	v_pk_fma_f32 v[58:59], v[44:45], v[16:17], v[60:61] op_sel:[0,0,1] op_sel_hi:[1,1,0] neg_lo:[0,0,1] neg_hi:[0,0,1]
	v_pk_fma_f32 v[8:9], v[44:45], v[16:17], v[60:61] op_sel:[0,0,1] op_sel_hi:[1,0,0]
	v_pk_mul_f32 v[10:11], v[50:51], v[62:63] op_sel_hi:[1,0]
	v_pk_fma_f32 v[16:17], v[52:53], v[20:21], v[64:65] op_sel:[0,0,1] op_sel_hi:[1,1,0] neg_lo:[0,0,1] neg_hi:[0,0,1]
	v_pk_fma_f32 v[12:13], v[52:53], v[20:21], v[64:65] op_sel:[0,0,1] op_sel_hi:[1,0,0]
	v_pk_mul_f32 v[20:21], v[46:47], v[66:67] op_sel_hi:[1,0]
	v_pk_fma_f32 v[44:45], v[48:49], v[24:25], v[68:69] op_sel:[0,0,1] op_sel_hi:[1,1,0] neg_lo:[0,0,1] neg_hi:[0,0,1]
	v_pk_fma_f32 v[24:25], v[48:49], v[24:25], v[68:69] op_sel:[0,0,1] op_sel_hi:[1,0,0]
	v_pk_fma_f32 v[48:49], v[14:15], v[42:43], v[6:7] neg_lo:[0,0,1] neg_hi:[0,0,1]
	v_pk_fma_f32 v[6:7], v[14:15], v[42:43], v[6:7] op_sel_hi:[1,0,1]
	v_mov_b32_e32 v59, v9
	v_pk_fma_f32 v[42:43], v[50:51], v[18:19], v[10:11] op_sel:[0,0,1] op_sel_hi:[1,1,0] neg_lo:[0,0,1] neg_hi:[0,0,1]
	v_pk_fma_f32 v[8:9], v[50:51], v[18:19], v[10:11] op_sel:[0,0,1] op_sel_hi:[1,0,0]
	v_pk_fma_f32 v[50:51], v[46:47], v[22:23], v[20:21] op_sel:[0,0,1] op_sel_hi:[1,1,0] neg_lo:[0,0,1] neg_hi:[0,0,1]
	v_pk_fma_f32 v[10:11], v[46:47], v[22:23], v[20:21] op_sel:[0,0,1] op_sel_hi:[1,0,0]
	v_mov_b32_e32 v45, v25
	v_mov_b32_e32 v49, v7
	;; [unrolled: 1-line block ×3, first 2 shown]
	v_pk_add_f32 v[18:19], v[48:49], v[44:45] neg_lo:[0,1] neg_hi:[0,1]
	v_mov_b32_e32 v17, v13
	v_pk_add_f32 v[12:13], v[48:49], v[44:45]
	v_pk_add_f32 v[14:15], v[58:59], v[50:51] neg_lo:[0,1] neg_hi:[0,1]
	v_pk_mul_f32 v[20:21], v[18:19], s[0:1] op_sel:[1,0] op_sel_hi:[0,0]
	v_mov_b32_e32 v43, v9
	v_pk_add_f32 v[8:9], v[58:59], v[50:51]
	v_pk_mul_f32 v[22:23], v[14:15], s[6:7] op_sel:[1,0] op_sel_hi:[0,0]
	v_pk_fma_f32 v[46:47], v[12:13], s[14:15], v[20:21] op_sel_hi:[1,0,1]
	v_pk_fma_f32 v[52:53], v[12:13], s[14:15], v[20:21] op_sel_hi:[1,0,1] neg_lo:[0,0,1] neg_hi:[0,0,1]
	v_add_u32_e32 v20, 0xc00, v54
	v_pk_fma_f32 v[60:61], v[8:9], s[8:9], v[22:23] op_sel_hi:[1,0,1]
	v_pk_fma_f32 v[62:63], v[8:9], s[8:9], v[22:23] op_sel_hi:[1,0,1] neg_lo:[0,0,1] neg_hi:[0,0,1]
	ds_read2_b64 v[20:23], v20 offset0:126 offset1:177
	v_pk_add_f32 v[10:11], v[42:43], v[16:17] neg_lo:[0,1] neg_hi:[0,1]
	v_pk_add_f32 v[6:7], v[42:43], v[16:17]
	v_pk_mul_f32 v[38:39], v[10:11], s[12:13] op_sel:[1,0] op_sel_hi:[0,0]
	v_pk_fma_f32 v[64:65], v[6:7], s[18:19], v[38:39] op_sel_hi:[1,0,1]
	v_pk_fma_f32 v[66:67], v[6:7], s[18:19], v[38:39] op_sel_hi:[1,0,1] neg_lo:[0,0,1] neg_hi:[0,0,1]
	v_lshlrev_b32_sdwa v38, v74, v55 dst_sel:DWORD dst_unused:UNUSED_PAD src0_sel:DWORD src1_sel:BYTE_0
	v_mov_b32_e32 v40, v27
	v_add3_u32 v55, 0, v75, v38
	ds_read_b64 v[38:39], v54 offset:4896
	s_waitcnt lgkmcnt(1)
	v_pk_mul_f32 v[40:41], v[20:21], v[40:41] op_sel_hi:[1,0]
	v_add_f32_e32 v24, v77, v4
	v_pk_fma_f32 v[74:75], v[20:21], v[26:27], v[40:41] op_sel:[0,0,1] op_sel_hi:[1,1,0] neg_lo:[0,0,1] neg_hi:[0,0,1]
	v_pk_fma_f32 v[20:21], v[20:21], v[26:27], v[40:41] op_sel:[0,0,1] op_sel_hi:[1,0,0]
	v_add_f32_e32 v25, v76, v5
	v_mov_b32_e32 v75, v21
	s_waitcnt vmcnt(0)
	v_pk_mul_f32 v[20:21], v[22:23], v[34:35] op_sel:[0,1]
	v_pk_add_f32 v[78:79], v[56:57], v[74:75]
	v_pk_fma_f32 v[26:27], v[22:23], v[34:35], v[20:21] op_sel:[0,0,1] op_sel_hi:[1,1,0] neg_lo:[0,0,1] neg_hi:[0,0,1]
	v_pk_fma_f32 v[20:21], v[22:23], v[34:35], v[20:21] op_sel:[0,0,1] op_sel_hi:[1,0,0]
	v_mov_b32_e32 v69, v53
	v_mov_b32_e32 v20, v37
	v_mov_b32_e32 v27, v21
	s_waitcnt lgkmcnt(0)
	v_pk_mul_f32 v[20:21], v[38:39], v[20:21] op_sel_hi:[1,0]
	v_mov_b32_e32 v53, v47
	v_pk_fma_f32 v[22:23], v[38:39], v[36:37], v[20:21] op_sel:[0,0,1] op_sel_hi:[1,0,0] neg_lo:[0,0,1] neg_hi:[0,0,1]
	v_pk_fma_f32 v[20:21], v[38:39], v[36:37], v[20:21] op_sel:[0,0,1] op_sel_hi:[1,0,0]
	v_sub_f32_e32 v41, v77, v22
	v_mov_b32_e32 v23, v21
	v_add_f32_e32 v39, v76, v21
	v_sub_f32_e32 v40, v76, v21
	v_pk_add_f32 v[20:21], v[24:25], v[0:1]
	v_add_f32_e32 v38, v77, v22
	v_pk_add_f32 v[20:21], v[20:21], v[56:57]
	v_pk_add_f32 v[76:77], v[0:1], v[26:27] neg_lo:[0,1] neg_hi:[0,1]
	v_pk_add_f32 v[20:21], v[20:21], v[48:49]
	v_pk_add_f32 v[56:57], v[56:57], v[74:75] neg_lo:[0,1] neg_hi:[0,1]
	v_pk_add_f32 v[20:21], v[20:21], v[58:59]
	v_pk_add_f32 v[58:59], v[0:1], v[26:27]
	;; [unrolled: 1-line block ×3, first 2 shown]
	v_mov_b32_e32 v71, v63
	v_pk_add_f32 v[16:17], v[20:21], v[16:17]
	v_pk_mul_f32 v[20:21], v[40:41], s[20:21] op_sel_hi:[1,0]
	v_pk_add_f32 v[16:17], v[16:17], v[50:51]
	s_mov_b32 s20, 0xbf52af12
	v_pk_add_f32 v[16:17], v[16:17], v[44:45]
	v_pk_mul_f32 v[0:1], v[76:77], s[20:21] op_sel:[1,0] op_sel_hi:[0,0]
	v_pk_add_f32 v[16:17], v[16:17], v[74:75]
	v_pk_fma_f32 v[34:35], v[58:59], s[26:27], v[0:1] op_sel_hi:[1,0,1] neg_lo:[0,0,1] neg_hi:[0,0,1]
	v_pk_add_f32 v[16:17], v[16:17], v[26:27]
	v_pk_fma_f32 v[26:27], v[58:59], s[26:27], v[0:1] op_sel_hi:[1,0,1]
	v_pk_add_f32 v[16:17], v[16:17], v[22:23]
	v_pk_fma_f32 v[22:23], v[38:39], s[24:25], v[20:21] op_sel_hi:[1,0,1]
	v_pk_fma_f32 v[20:21], v[38:39], s[24:25], v[20:21] op_sel_hi:[1,0,1] neg_lo:[0,0,1] neg_hi:[0,0,1]
	v_mov_b32_e32 v24, v22
	v_mov_b32_e32 v25, v21
	v_pk_add_f32 v[24:25], v[24:25], v[4:5]
	v_mov_b32_e32 v0, v26
	v_mov_b32_e32 v1, v35
	v_pk_add_f32 v[0:1], v[0:1], v[24:25]
	v_pk_mul_f32 v[24:25], v[56:57], s[22:23] op_sel:[1,0] op_sel_hi:[0,0]
	v_mov_b32_e32 v21, v23
	v_pk_fma_f32 v[36:37], v[78:79], s[28:29], v[24:25] op_sel_hi:[1,0,1]
	v_pk_fma_f32 v[24:25], v[78:79], s[28:29], v[24:25] op_sel_hi:[1,0,1] neg_lo:[0,0,1] neg_hi:[0,0,1]
	v_pk_add_f32 v[20:21], v[20:21], v[4:5]
	v_mov_b32_e32 v35, v27
	v_mov_b32_e32 v43, v25
	v_pk_add_f32 v[20:21], v[34:35], v[20:21]
	v_mov_b32_e32 v25, v37
	v_pk_add_f32 v[20:21], v[24:25], v[20:21]
	v_mov_b32_e32 v37, v39
	v_mov_b32_e32 v39, v41
	s_mov_b32 s27, s20
	v_mov_b32_e32 v42, v36
	v_mov_b32_e32 v63, v61
	v_pk_add_f32 v[20:21], v[52:53], v[20:21]
	v_mov_b32_e32 v36, v40
	s_mov_b32 s21, s26
	v_pk_mul_f32 v[44:45], v[38:39], s[26:27]
	v_mov_b32_e32 v68, v46
	v_mov_b32_e32 v73, v67
	v_pk_add_f32 v[0:1], v[42:43], v[0:1]
	v_mov_b32_e32 v67, v65
	v_pk_add_f32 v[20:21], v[62:63], v[20:21]
	v_pk_fma_f32 v[46:47], v[40:41], s[20:21], v[44:45] neg_lo:[1,0,0] neg_hi:[1,0,0]
	v_pk_fma_f32 v[42:43], v[36:37], s[20:21], v[44:45]
	v_pk_add_f32 v[20:21], v[66:67], v[20:21]
	v_mov_b32_e32 v47, v43
	v_pk_mul_f32 v[48:49], v[76:77], s[0:1] op_sel:[1,0] op_sel_hi:[0,0]
	s_waitcnt lgkmcnt(0)
	; wave barrier
	ds_write2_b64 v55, v[16:17], v[20:21] offset1:17
	v_pk_mul_f32 v[20:21], v[14:15], s[34:35] op_sel:[1,0] op_sel_hi:[0,0]
	v_pk_add_f32 v[50:51], v[46:47], v[4:5]
	v_pk_fma_f32 v[46:47], v[58:59], s[14:15], v[48:49] op_sel_hi:[1,0,1] neg_lo:[0,0,1] neg_hi:[0,0,1]
	v_pk_fma_f32 v[48:49], v[58:59], s[14:15], v[48:49] op_sel_hi:[1,0,1]
	v_pk_fma_f32 v[26:27], v[8:9], s[28:29], v[20:21] op_sel_hi:[1,0,1] neg_lo:[0,0,1] neg_hi:[0,0,1]
	v_pk_fma_f32 v[20:21], v[8:9], s[28:29], v[20:21] op_sel_hi:[1,0,1]
	v_mov_b32_e32 v52, v46
	v_mov_b32_e32 v53, v49
	s_mov_b32 s29, s22
	v_pk_add_f32 v[66:67], v[52:53], v[50:51]
	v_pk_mul_f32 v[52:53], v[56:57], s[12:13] op_sel:[1,0] op_sel_hi:[0,0]
	s_mov_b32 s23, s28
	v_pk_mul_f32 v[84:85], v[38:39], s[28:29]
	v_pk_mul_f32 v[16:17], v[18:19], s[36:37] op_sel:[1,0] op_sel_hi:[0,0]
	v_pk_fma_f32 v[50:51], v[78:79], s[18:19], v[52:53] op_sel_hi:[1,0,1] neg_lo:[0,0,1] neg_hi:[0,0,1]
	v_pk_fma_f32 v[52:53], v[78:79], s[18:19], v[52:53] op_sel_hi:[1,0,1]
	v_pk_fma_f32 v[86:87], v[40:41], s[22:23], v[84:85] neg_lo:[1,0,0] neg_hi:[1,0,0]
	v_pk_fma_f32 v[88:89], v[36:37], s[22:23], v[84:85]
	v_pk_mul_f32 v[90:91], v[76:77], s[12:13] op_sel:[1,0] op_sel_hi:[0,0]
	v_pk_add_f32 v[0:1], v[68:69], v[0:1]
	v_pk_fma_f32 v[24:25], v[12:13], s[8:9], v[16:17] op_sel_hi:[1,0,1] neg_lo:[0,0,1] neg_hi:[0,0,1]
	v_pk_fma_f32 v[16:17], v[12:13], s[8:9], v[16:17] op_sel_hi:[1,0,1]
	v_mov_b32_e32 v68, v50
	v_mov_b32_e32 v69, v53
	v_mov_b32_e32 v87, v89
	v_pk_fma_f32 v[92:93], v[58:59], s[18:19], v[90:91] op_sel_hi:[1,0,1] neg_lo:[0,0,1] neg_hi:[0,0,1]
	v_pk_fma_f32 v[90:91], v[58:59], s[18:19], v[90:91] op_sel_hi:[1,0,1]
	v_mov_b32_e32 v70, v60
	v_mov_b32_e32 v60, v24
	v_mov_b32_e32 v61, v17
	v_pk_mul_f32 v[22:23], v[10:11], s[30:31] op_sel:[1,0] op_sel_hi:[0,0]
	v_pk_add_f32 v[66:67], v[68:69], v[66:67]
	v_pk_add_f32 v[86:87], v[86:87], v[4:5]
	v_mov_b32_e32 v94, v92
	v_mov_b32_e32 v95, v91
	;; [unrolled: 1-line block ×4, first 2 shown]
	v_pk_fma_f32 v[34:35], v[6:7], s[24:25], v[22:23] op_sel_hi:[1,0,1] neg_lo:[0,0,1] neg_hi:[0,0,1]
	v_pk_fma_f32 v[22:23], v[6:7], s[24:25], v[22:23] op_sel_hi:[1,0,1]
	v_pk_add_f32 v[60:61], v[60:61], v[66:67]
	v_pk_add_f32 v[86:87], v[94:95], v[86:87]
	v_pk_mul_f32 v[94:95], v[56:57], s[38:39] op_sel:[1,0] op_sel_hi:[0,0]
	v_mov_b32_e32 v72, v64
	v_mov_b32_e32 v64, v34
	;; [unrolled: 1-line block ×3, first 2 shown]
	v_pk_add_f32 v[60:61], v[62:63], v[60:61]
	v_pk_mul_f32 v[62:63], v[18:19], s[30:31] op_sel:[1,0] op_sel_hi:[0,0]
	v_pk_fma_f32 v[96:97], v[78:79], s[14:15], v[94:95] op_sel_hi:[1,0,1] neg_lo:[0,0,1] neg_hi:[0,0,1]
	v_pk_fma_f32 v[94:95], v[78:79], s[14:15], v[94:95] op_sel_hi:[1,0,1]
	s_mov_b32 s15, s0
	v_pk_add_f32 v[60:61], v[64:65], v[60:61]
	v_pk_fma_f32 v[64:65], v[12:13], s[24:25], v[62:63] op_sel_hi:[1,0,1] neg_lo:[0,0,1] neg_hi:[0,0,1]
	v_pk_fma_f32 v[62:63], v[12:13], s[24:25], v[62:63] op_sel_hi:[1,0,1]
	v_pk_mul_f32 v[68:69], v[14:15], s[20:21] op_sel:[1,0] op_sel_hi:[0,0]
	v_mov_b32_e32 v98, v96
	v_mov_b32_e32 v99, v95
	s_mov_b32 s1, s14
	v_pk_mul_f32 v[106:107], v[38:39], s[14:15]
	v_pk_add_f32 v[0:1], v[70:71], v[0:1]
	v_mov_b32_e32 v66, v64
	v_mov_b32_e32 v67, v63
	v_pk_fma_f32 v[70:71], v[8:9], s[26:27], v[68:69] op_sel_hi:[1,0,1] neg_lo:[0,0,1] neg_hi:[0,0,1]
	v_pk_fma_f32 v[68:69], v[8:9], s[26:27], v[68:69] op_sel_hi:[1,0,1]
	v_pk_mul_f32 v[74:75], v[10:11], s[6:7] op_sel:[1,0] op_sel_hi:[0,0]
	v_pk_add_f32 v[86:87], v[98:99], v[86:87]
	v_pk_fma_f32 v[108:109], v[40:41], s[0:1], v[106:107] neg_lo:[1,0,0] neg_hi:[1,0,0]
	v_pk_fma_f32 v[110:111], v[36:37], s[0:1], v[106:107]
	v_pk_mul_f32 v[112:113], v[76:77], s[36:37] op_sel:[1,0] op_sel_hi:[0,0]
	v_pk_add_f32 v[0:1], v[72:73], v[0:1]
	v_mov_b32_e32 v72, v70
	v_mov_b32_e32 v73, v69
	v_pk_fma_f32 v[80:81], v[6:7], s[8:9], v[74:75] op_sel_hi:[1,0,1] neg_lo:[0,0,1] neg_hi:[0,0,1]
	v_pk_fma_f32 v[74:75], v[6:7], s[8:9], v[74:75] op_sel_hi:[1,0,1]
	v_pk_add_f32 v[66:67], v[66:67], v[86:87]
	v_mov_b32_e32 v109, v111
	v_pk_fma_f32 v[114:115], v[58:59], s[8:9], v[112:113] op_sel_hi:[1,0,1] neg_lo:[0,0,1] neg_hi:[0,0,1]
	v_pk_fma_f32 v[112:113], v[58:59], s[8:9], v[112:113] op_sel_hi:[1,0,1]
	v_mov_b32_e32 v82, v80
	v_mov_b32_e32 v83, v75
	v_pk_add_f32 v[66:67], v[72:73], v[66:67]
	v_pk_add_f32 v[108:109], v[108:109], v[4:5]
	v_mov_b32_e32 v116, v114
	v_mov_b32_e32 v117, v113
	s_mov_b32 s9, s6
	v_pk_add_f32 v[66:67], v[82:83], v[66:67]
	v_pk_add_f32 v[108:109], v[116:117], v[108:109]
	v_pk_mul_f32 v[116:117], v[56:57], s[30:31] op_sel:[1,0] op_sel_hi:[0,0]
	s_mov_b32 s7, s8
	v_pk_mul_f32 v[132:133], v[38:39], s[8:9]
	ds_write2_b64 v55, v[60:61], v[66:67] offset0:34 offset1:51
	v_pk_mul_f32 v[60:61], v[18:19], s[22:23] op_sel:[1,0] op_sel_hi:[0,0]
	s_mov_b32 s38, 0x3e750f2a
	v_pk_fma_f32 v[118:119], v[78:79], s[24:25], v[116:117] op_sel_hi:[1,0,1] neg_lo:[0,0,1] neg_hi:[0,0,1]
	v_pk_fma_f32 v[116:117], v[78:79], s[24:25], v[116:117] op_sel_hi:[1,0,1]
	v_pk_fma_f32 v[134:135], v[40:41], s[6:7], v[132:133] neg_lo:[1,0,0] neg_hi:[1,0,0]
	v_pk_fma_f32 v[136:137], v[36:37], s[6:7], v[132:133]
	v_pk_mul_f32 v[138:139], v[76:77], s[34:35] op_sel:[1,0] op_sel_hi:[0,0]
	v_pk_fma_f32 v[66:67], v[12:13], s[28:29], v[60:61] op_sel_hi:[1,0,1] neg_lo:[0,0,1] neg_hi:[0,0,1]
	v_pk_fma_f32 v[60:61], v[12:13], s[28:29], v[60:61] op_sel_hi:[1,0,1]
	v_pk_mul_f32 v[82:83], v[14:15], s[38:39] op_sel:[1,0] op_sel_hi:[0,0]
	v_mov_b32_e32 v120, v118
	v_mov_b32_e32 v121, v117
	;; [unrolled: 1-line block ×3, first 2 shown]
	v_pk_fma_f32 v[140:141], v[58:59], s[28:29], v[138:139] op_sel_hi:[1,0,1] neg_lo:[0,0,1] neg_hi:[0,0,1]
	v_pk_fma_f32 v[138:139], v[58:59], s[28:29], v[138:139] op_sel_hi:[1,0,1]
	v_mov_b32_e32 v72, v66
	v_mov_b32_e32 v73, v61
	v_pk_fma_f32 v[86:87], v[8:9], s[18:19], v[82:83] op_sel_hi:[1,0,1] neg_lo:[0,0,1] neg_hi:[0,0,1]
	v_pk_fma_f32 v[82:83], v[8:9], s[18:19], v[82:83] op_sel_hi:[1,0,1]
	v_pk_mul_f32 v[100:101], v[10:11], s[40:41] op_sel:[1,0] op_sel_hi:[0,0]
	v_pk_add_f32 v[108:109], v[120:121], v[108:109]
	v_pk_add_f32 v[134:135], v[134:135], v[4:5]
	v_mov_b32_e32 v142, v140
	v_mov_b32_e32 v143, v139
	;; [unrolled: 1-line block ×4, first 2 shown]
	v_pk_fma_f32 v[102:103], v[6:7], s[26:27], v[100:101] op_sel_hi:[1,0,1] neg_lo:[0,0,1] neg_hi:[0,0,1]
	v_pk_fma_f32 v[100:101], v[6:7], s[26:27], v[100:101] op_sel_hi:[1,0,1]
	v_pk_add_f32 v[72:73], v[72:73], v[108:109]
	v_pk_add_f32 v[134:135], v[142:143], v[134:135]
	v_pk_mul_f32 v[142:143], v[56:57], s[20:21] op_sel:[1,0] op_sel_hi:[0,0]
	v_mov_b32_e32 v104, v102
	v_mov_b32_e32 v105, v101
	v_pk_add_f32 v[72:73], v[98:99], v[72:73]
	v_pk_mul_f32 v[98:99], v[18:19], s[38:39] op_sel:[1,0] op_sel_hi:[0,0]
	v_pk_fma_f32 v[144:145], v[78:79], s[26:27], v[142:143] op_sel_hi:[1,0,1] neg_lo:[0,0,1] neg_hi:[0,0,1]
	v_pk_fma_f32 v[142:143], v[78:79], s[26:27], v[142:143] op_sel_hi:[1,0,1]
	v_pk_add_f32 v[72:73], v[104:105], v[72:73]
	v_pk_fma_f32 v[104:105], v[12:13], s[18:19], v[98:99] op_sel_hi:[1,0,1] neg_lo:[0,0,1] neg_hi:[0,0,1]
	v_pk_fma_f32 v[98:99], v[12:13], s[18:19], v[98:99] op_sel_hi:[1,0,1]
	v_pk_mul_f32 v[120:121], v[14:15], s[30:31] op_sel:[1,0] op_sel_hi:[0,0]
	v_mov_b32_e32 v146, v144
	v_mov_b32_e32 v147, v143
	;; [unrolled: 1-line block ×4, first 2 shown]
	v_pk_fma_f32 v[122:123], v[8:9], s[24:25], v[120:121] op_sel_hi:[1,0,1] neg_lo:[0,0,1] neg_hi:[0,0,1]
	v_pk_fma_f32 v[120:121], v[8:9], s[24:25], v[120:121] op_sel_hi:[1,0,1]
	v_pk_mul_f32 v[126:127], v[10:11], s[0:1] op_sel:[1,0] op_sel_hi:[0,0]
	v_pk_add_f32 v[134:135], v[146:147], v[134:135]
	v_mov_b32_e32 v124, v122
	v_mov_b32_e32 v125, v121
	v_pk_fma_f32 v[128:129], v[6:7], s[14:15], v[126:127] op_sel_hi:[1,0,1] neg_lo:[0,0,1] neg_hi:[0,0,1]
	v_pk_fma_f32 v[126:127], v[6:7], s[14:15], v[126:127] op_sel_hi:[1,0,1]
	v_pk_add_f32 v[108:109], v[108:109], v[134:135]
	s_mov_b32 s19, s12
	v_mov_b32_e32 v130, v128
	v_mov_b32_e32 v131, v127
	v_pk_add_f32 v[108:109], v[124:125], v[108:109]
	s_mov_b32 s13, s18
	v_pk_mul_f32 v[38:39], v[38:39], s[18:19]
	v_pk_add_f32 v[108:109], v[130:131], v[108:109]
	v_pk_fma_f32 v[40:41], v[40:41], s[12:13], v[38:39] neg_lo:[1,0,0] neg_hi:[1,0,0]
	v_pk_fma_f32 v[130:131], v[36:37], s[12:13], v[38:39]
	v_pk_mul_f32 v[76:77], v[76:77], s[30:31] op_sel:[1,0] op_sel_hi:[0,0]
	v_mov_b32_e32 v41, v131
	v_pk_fma_f32 v[134:135], v[58:59], s[24:25], v[76:77] op_sel_hi:[1,0,1] neg_lo:[0,0,1] neg_hi:[0,0,1]
	v_pk_fma_f32 v[58:59], v[58:59], s[24:25], v[76:77] op_sel_hi:[1,0,1]
	v_pk_add_f32 v[40:41], v[40:41], v[4:5]
	v_mov_b32_e32 v76, v134
	v_mov_b32_e32 v77, v59
	v_pk_mul_f32 v[56:57], v[56:57], s[6:7] op_sel:[1,0] op_sel_hi:[0,0]
	v_pk_mul_f32 v[18:19], v[18:19], s[40:41] op_sel:[1,0] op_sel_hi:[0,0]
	v_pk_add_f32 v[40:41], v[76:77], v[40:41]
	v_pk_fma_f32 v[76:77], v[78:79], s[8:9], v[56:57] op_sel_hi:[1,0,1] neg_lo:[0,0,1] neg_hi:[0,0,1]
	v_pk_fma_f32 v[56:57], v[78:79], s[8:9], v[56:57] op_sel_hi:[1,0,1]
	ds_write2_b64 v55, v[72:73], v[108:109] offset0:68 offset1:85
	v_pk_fma_f32 v[72:73], v[12:13], s[26:27], v[18:19] op_sel_hi:[1,0,1] neg_lo:[0,0,1] neg_hi:[0,0,1]
	v_pk_fma_f32 v[12:13], v[12:13], s[26:27], v[18:19] op_sel_hi:[1,0,1]
	v_pk_mul_f32 v[14:15], v[14:15], s[0:1] op_sel:[1,0] op_sel_hi:[0,0]
	v_mov_b32_e32 v78, v76
	v_mov_b32_e32 v79, v57
	v_mov_b32_e32 v18, v72
	v_mov_b32_e32 v19, v13
	v_pk_fma_f32 v[108:109], v[8:9], s[14:15], v[14:15] op_sel_hi:[1,0,1] neg_lo:[0,0,1] neg_hi:[0,0,1]
	v_pk_fma_f32 v[8:9], v[8:9], s[14:15], v[14:15] op_sel_hi:[1,0,1]
	v_pk_mul_f32 v[10:11], v[10:11], s[34:35] op_sel:[1,0] op_sel_hi:[0,0]
	v_pk_add_f32 v[40:41], v[78:79], v[40:41]
	v_mov_b32_e32 v14, v108
	v_mov_b32_e32 v15, v9
	v_pk_fma_f32 v[124:125], v[6:7], s[28:29], v[10:11] op_sel_hi:[1,0,1] neg_lo:[0,0,1] neg_hi:[0,0,1]
	v_pk_fma_f32 v[6:7], v[6:7], s[28:29], v[10:11] op_sel_hi:[1,0,1]
	v_pk_add_f32 v[18:19], v[18:19], v[40:41]
	v_mov_b32_e32 v10, v124
	v_mov_b32_e32 v11, v7
	v_pk_add_f32 v[14:15], v[14:15], v[18:19]
	v_mov_b32_e32 v59, v135
	v_pk_add_f32 v[10:11], v[10:11], v[14:15]
	v_pk_fma_f32 v[14:15], v[36:37], s[12:13], v[38:39] neg_lo:[0,0,1] neg_hi:[0,0,1]
	v_mov_b32_e32 v57, v77
	v_mov_b32_e32 v131, v15
	v_pk_add_f32 v[14:15], v[130:131], v[4:5]
	v_mov_b32_e32 v13, v73
	v_pk_add_f32 v[14:15], v[58:59], v[14:15]
	;; [unrolled: 2-line block ×6, first 2 shown]
	ds_write2_b64 v55, v[10:11], v[6:7] offset0:102 offset1:119
	v_pk_fma_f32 v[6:7], v[36:37], s[6:7], v[132:133] neg_lo:[0,0,1] neg_hi:[0,0,1]
	v_pk_fma_f32 v[8:9], v[36:37], s[0:1], v[106:107] neg_lo:[0,0,1] neg_hi:[0,0,1]
	v_mov_b32_e32 v137, v7
	v_mov_b32_e32 v111, v9
	v_pk_add_f32 v[6:7], v[136:137], v[4:5]
	v_pk_add_f32 v[8:9], v[110:111], v[4:5]
	;; [unrolled: 1-line block ×3, first 2 shown]
	v_mov_b32_e32 v143, v145
	v_pk_add_f32 v[8:9], v[112:113], v[8:9]
	v_mov_b32_e32 v117, v119
	v_mov_b32_e32 v99, v105
	v_pk_add_f32 v[6:7], v[142:143], v[6:7]
	v_mov_b32_e32 v61, v67
	v_pk_add_f32 v[8:9], v[116:117], v[8:9]
	;; [unrolled: 2-line block ×6, first 2 shown]
	v_pk_add_f32 v[6:7], v[126:127], v[6:7]
	v_pk_add_f32 v[8:9], v[100:101], v[8:9]
	ds_write2_b64 v55, v[6:7], v[8:9] offset0:136 offset1:153
	v_pk_fma_f32 v[6:7], v[36:37], s[22:23], v[84:85] neg_lo:[0,0,1] neg_hi:[0,0,1]
	v_pk_fma_f32 v[8:9], v[36:37], s[20:21], v[44:45] neg_lo:[0,0,1] neg_hi:[0,0,1]
	v_mov_b32_e32 v89, v7
	v_mov_b32_e32 v43, v9
	v_pk_add_f32 v[6:7], v[88:89], v[4:5]
	v_mov_b32_e32 v91, v93
	v_pk_add_f32 v[4:5], v[42:43], v[4:5]
	;; [unrolled: 2-line block ×4, first 2 shown]
	v_mov_b32_e32 v53, v51
	v_mov_b32_e32 v63, v65
	v_pk_add_f32 v[6:7], v[94:95], v[6:7]
	v_mov_b32_e32 v17, v25
	v_pk_add_f32 v[4:5], v[52:53], v[4:5]
	;; [unrolled: 2-line block ×6, first 2 shown]
	v_pk_add_f32 v[6:7], v[74:75], v[6:7]
	v_pk_add_f32 v[4:5], v[22:23], v[4:5]
	ds_write2_b64 v55, v[6:7], v[4:5] offset0:170 offset1:187
	ds_write_b64 v55, v[0:1] offset:1632
	v_add_u32_e32 v4, 0x400, v54
	s_waitcnt lgkmcnt(0)
	; wave barrier
	s_waitcnt lgkmcnt(0)
	ds_read2_b64 v[16:19], v54 offset1:51
	ds_read2_b64 v[24:27], v4 offset0:93 offset1:144
	ds_read2_b64 v[20:23], v148 offset0:186 offset1:237
	;; [unrolled: 1-line block ×4, first 2 shown]
	v_add_u32_e32 v8, 0x1000, v54
	ds_read2_b64 v[8:11], v8 offset0:32 offset1:83
	v_cmp_gt_u32_e64 s[0:1], 17, v172
	s_and_saveexec_b64 s[6:7], s[0:1]
	s_cbranch_execz .LBB0_15
; %bb.14:
	v_add_u32_e32 v0, 0x600, v54
	ds_read2_b64 v[0:3], v0 offset0:12 offset1:233
	ds_read_b64 v[32:33], v54 offset:5168
.LBB0_15:
	s_or_b64 exec, exec, s[6:7]
	s_and_saveexec_b64 s[6:7], vcc
	s_cbranch_execz .LBB0_18
; %bb.16:
	v_add_u32_e32 v71, 0x99, v172
	v_add_u32_e32 v70, 0x66, v172
	v_lshlrev_b32_e32 v34, 1, v71
	v_mov_b32_e32 v35, 0
	v_add_u32_e32 v49, 51, v172
	v_lshl_add_u64 v[52:53], v[34:35], 3, s[4:5]
	v_lshlrev_b32_e32 v34, 1, v70
	v_lshl_add_u64 v[54:55], v[34:35], 3, s[4:5]
	v_lshlrev_b32_e32 v34, 1, v49
	;; [unrolled: 2-line block ×3, first 2 shown]
	v_lshl_add_u64 v[46:47], v[34:35], 3, s[4:5]
	global_load_dwordx4 v[36:39], v[46:47], off offset:1632
	global_load_dwordx4 v[40:43], v[44:45], off offset:1632
	v_mul_lo_u32 v34, s3, v30
	v_mul_lo_u32 v46, s2, v31
	v_mad_u64_u32 v[30:31], s[2:3], s2, v30, 0
	v_mad_u64_u32 v[44:45], s[2:3], s16, v172, 0
	v_add_u32_e32 v51, 0xdd, v172
	v_add_u32_e32 v67, 0x1ba, v172
	;; [unrolled: 1-line block ×4, first 2 shown]
	v_add3_u32 v31, v31, v46, v34
	v_mov_b32_e32 v34, v45
	v_mad_u64_u32 v[56:57], s[6:7], s16, v51, 0
	v_mad_u64_u32 v[58:59], s[6:7], s16, v67, 0
	;; [unrolled: 1-line block ×6, first 2 shown]
	v_lshl_add_u64 v[30:31], v[30:31], 3, s[10:11]
	v_mov_b32_e32 v34, v57
	v_mov_b32_e32 v48, v59
	;; [unrolled: 1-line block ×6, first 2 shown]
	v_lshl_add_u64 v[28:29], v[28:29], 3, v[30:31]
	v_mad_u64_u32 v[30:31], s[6:7], s17, v51, v[34:35]
	v_mad_u64_u32 v[46:47], s[6:7], s17, v67, v[48:49]
	;; [unrolled: 1-line block ×5, first 2 shown]
	v_lshl_add_u64 v[68:69], v[44:45], 3, v[28:29]
	v_mov_b32_e32 v59, v46
	v_mov_b32_e32 v61, v48
	;; [unrolled: 1-line block ×3, first 2 shown]
	global_load_dwordx4 v[44:47], v[52:53], off offset:1632
	global_load_dwordx4 v[48:51], v[54:55], off offset:1632
	v_mov_b32_e32 v57, v30
	v_lshl_add_u64 v[30:31], v[56:57], 3, v[28:29]
	v_lshl_add_u64 v[54:55], v[60:61], 3, v[28:29]
	;; [unrolled: 1-line block ×3, first 2 shown]
	v_mov_b32_e32 v65, v66
	s_movk_i32 s3, 0x1ba
	s_mov_b32 s2, 0x3f5db3d7
	v_lshl_add_u64 v[52:53], v[58:59], 3, v[28:29]
	v_lshl_add_u64 v[58:59], v[64:65], 3, v[28:29]
	s_mov_b32 s8, 0x288b0129
	s_waitcnt vmcnt(3) lgkmcnt(4)
	v_pk_mul_f32 v[60:61], v[36:37], v[24:25] op_sel:[0,1]
	s_waitcnt lgkmcnt(3)
	v_pk_mul_f32 v[62:63], v[38:39], v[20:21] op_sel:[0,1]
	v_pk_fma_f32 v[66:67], v[36:37], v[24:25], v[60:61] op_sel:[0,0,1] op_sel_hi:[1,1,0] neg_lo:[0,0,1] neg_hi:[0,0,1]
	v_pk_fma_f32 v[24:25], v[36:37], v[24:25], v[60:61] op_sel:[0,0,1] op_sel_hi:[1,0,0]
	v_pk_fma_f32 v[36:37], v[38:39], v[20:21], v[62:63] op_sel:[0,0,1] op_sel_hi:[1,1,0] neg_lo:[0,0,1] neg_hi:[0,0,1]
	v_pk_fma_f32 v[20:21], v[38:39], v[20:21], v[62:63] op_sel:[0,0,1] op_sel_hi:[1,0,0]
	v_mov_b32_e32 v67, v25
	v_mov_b32_e32 v37, v21
	v_pk_add_f32 v[20:21], v[66:67], v[36:37]
	v_pk_add_f32 v[24:25], v[66:67], v[36:37] neg_lo:[0,1] neg_hi:[0,1]
	v_pk_add_f32 v[38:39], v[16:17], v[66:67]
	v_pk_fma_f32 v[16:17], v[20:21], 0.5, v[16:17] op_sel_hi:[1,0,1] neg_lo:[1,0,0] neg_hi:[1,0,0]
	v_pk_mul_f32 v[20:21], v[24:25], s[2:3] op_sel_hi:[1,0]
	v_pk_add_f32 v[24:25], v[38:39], v[36:37]
	v_pk_add_f32 v[36:37], v[16:17], v[20:21] op_sel:[0,1] op_sel_hi:[1,0] neg_lo:[0,1] neg_hi:[0,1]
	v_pk_add_f32 v[16:17], v[16:17], v[20:21] op_sel:[0,1] op_sel_hi:[1,0]
	s_waitcnt vmcnt(2)
	v_pk_mul_f32 v[64:65], v[40:41], v[26:27] op_sel:[0,1]
	v_mov_b32_e32 v20, v16
	v_mov_b32_e32 v21, v37
	global_store_dwordx2 v[68:69], v[24:25], off
	v_mov_b32_e32 v37, v17
	global_store_dwordx2 v[30:31], v[20:21], off
	global_store_dwordx2 v[52:53], v[36:37], off
	v_pk_fma_f32 v[16:17], v[40:41], v[26:27], v[64:65] op_sel:[0,0,1] op_sel_hi:[1,1,0] neg_lo:[0,0,1] neg_hi:[0,0,1]
	v_pk_fma_f32 v[20:21], v[40:41], v[26:27], v[64:65] op_sel:[0,0,1] op_sel_hi:[1,0,0]
	s_nop 0
	v_mov_b32_e32 v17, v21
	v_pk_mul_f32 v[20:21], v[42:43], v[22:23] op_sel:[0,1]
	s_nop 0
	v_pk_fma_f32 v[24:25], v[42:43], v[22:23], v[20:21] op_sel:[0,0,1] op_sel_hi:[1,1,0] neg_lo:[0,0,1] neg_hi:[0,0,1]
	v_pk_fma_f32 v[20:21], v[42:43], v[22:23], v[20:21] op_sel:[0,0,1] op_sel_hi:[1,0,0]
	s_nop 0
	v_mov_b32_e32 v25, v21
	v_pk_add_f32 v[20:21], v[16:17], v[24:25]
	v_pk_add_f32 v[22:23], v[16:17], v[24:25] neg_lo:[0,1] neg_hi:[0,1]
	v_pk_fma_f32 v[20:21], v[20:21], 0.5, v[18:19] op_sel_hi:[1,0,1] neg_lo:[1,0,0] neg_hi:[1,0,0]
	v_pk_mul_f32 v[22:23], v[22:23], s[2:3] op_sel_hi:[1,0]
	v_pk_add_f32 v[16:17], v[18:19], v[16:17]
	v_pk_add_f32 v[26:27], v[20:21], v[22:23] op_sel:[0,1] op_sel_hi:[1,0] neg_lo:[0,1] neg_hi:[0,1]
	v_pk_add_f32 v[20:21], v[20:21], v[22:23] op_sel:[0,1] op_sel_hi:[1,0]
	v_pk_add_f32 v[16:17], v[16:17], v[24:25]
	global_store_dwordx2 v[54:55], v[16:17], off
	v_mov_b32_e32 v16, v20
	v_mov_b32_e32 v17, v27
	global_store_dwordx2 v[56:57], v[16:17], off
	v_mul_hi_u32 v16, v70, s8
	v_sub_u32_e32 v17, v70, v16
	v_lshrrev_b32_e32 v17, 1, v17
	v_add_u32_e32 v16, v17, v16
	v_lshrrev_b32_e32 v16, 7, v16
	v_mad_u32_u24 v22, v16, s3, v70
	v_mad_u64_u32 v[16:17], s[6:7], s16, v22, 0
	v_mov_b32_e32 v18, v17
	v_mov_b32_e32 v27, v21
	v_mad_u64_u32 v[18:19], s[6:7], s17, v22, v[18:19]
	v_add_u32_e32 v21, 0xdd, v22
	v_mov_b32_e32 v17, v18
	v_mad_u64_u32 v[18:19], s[6:7], s16, v21, 0
	v_mov_b32_e32 v20, v19
	v_mad_u64_u32 v[20:21], s[6:7], s17, v21, v[20:21]
	v_add_u32_e32 v23, 0x1ba, v22
	v_mov_b32_e32 v19, v20
	v_mad_u64_u32 v[20:21], s[6:7], s16, v23, 0
	v_mov_b32_e32 v22, v21
	v_mad_u64_u32 v[22:23], s[6:7], s17, v23, v[22:23]
	v_mov_b32_e32 v21, v22
	s_waitcnt vmcnt(5) lgkmcnt(1)
	v_pk_mul_f32 v[22:23], v[48:49], v[12:13] op_sel:[0,1]
	global_store_dwordx2 v[58:59], v[26:27], off
	v_pk_fma_f32 v[24:25], v[48:49], v[12:13], v[22:23] op_sel:[0,0,1] op_sel_hi:[1,1,0] neg_lo:[0,0,1] neg_hi:[0,0,1]
	v_pk_fma_f32 v[12:13], v[48:49], v[12:13], v[22:23] op_sel:[0,0,1] op_sel_hi:[1,0,0]
	v_lshl_add_u64 v[16:17], v[16:17], 3, v[28:29]
	v_mov_b32_e32 v25, v13
	s_waitcnt lgkmcnt(0)
	v_pk_mul_f32 v[12:13], v[50:51], v[8:9] op_sel:[0,1]
	v_lshl_add_u64 v[18:19], v[18:19], 3, v[28:29]
	v_pk_fma_f32 v[22:23], v[50:51], v[8:9], v[12:13] op_sel:[0,0,1] op_sel_hi:[1,1,0] neg_lo:[0,0,1] neg_hi:[0,0,1]
	v_pk_fma_f32 v[8:9], v[50:51], v[8:9], v[12:13] op_sel:[0,0,1] op_sel_hi:[1,0,0]
	v_lshl_add_u64 v[20:21], v[20:21], 3, v[28:29]
	v_mov_b32_e32 v23, v9
	v_pk_add_f32 v[8:9], v[24:25], v[22:23]
	v_pk_add_f32 v[12:13], v[24:25], v[22:23] neg_lo:[0,1] neg_hi:[0,1]
	v_pk_fma_f32 v[8:9], v[8:9], 0.5, v[4:5] op_sel_hi:[1,0,1] neg_lo:[1,0,0] neg_hi:[1,0,0]
	v_pk_mul_f32 v[12:13], v[12:13], s[2:3] op_sel_hi:[1,0]
	v_pk_add_f32 v[4:5], v[4:5], v[24:25]
	v_pk_add_f32 v[26:27], v[8:9], v[12:13] op_sel:[0,1] op_sel_hi:[1,0] neg_lo:[0,1] neg_hi:[0,1]
	v_pk_add_f32 v[8:9], v[8:9], v[12:13] op_sel:[0,1] op_sel_hi:[1,0]
	v_pk_add_f32 v[4:5], v[4:5], v[22:23]
	global_store_dwordx2 v[16:17], v[4:5], off
	v_mov_b32_e32 v4, v8
	v_mov_b32_e32 v5, v27
	global_store_dwordx2 v[18:19], v[4:5], off
	v_mul_hi_u32 v4, v71, s8
	v_sub_u32_e32 v5, v71, v4
	v_lshrrev_b32_e32 v5, 1, v5
	v_add_u32_e32 v4, v5, v4
	v_lshrrev_b32_e32 v4, 7, v4
	v_mad_u32_u24 v16, v4, s3, v71
	v_mad_u64_u32 v[4:5], s[6:7], s16, v16, 0
	v_mov_b32_e32 v8, v5
	v_mov_b32_e32 v27, v9
	v_mad_u64_u32 v[8:9], s[6:7], s17, v16, v[8:9]
	v_add_u32_e32 v13, 0xdd, v16
	v_mov_b32_e32 v5, v8
	v_mad_u64_u32 v[8:9], s[6:7], s16, v13, 0
	v_mov_b32_e32 v12, v9
	v_mad_u64_u32 v[12:13], s[6:7], s17, v13, v[12:13]
	v_add_u32_e32 v17, 0x1ba, v16
	v_mov_b32_e32 v9, v12
	v_mad_u64_u32 v[12:13], s[6:7], s16, v17, 0
	v_mov_b32_e32 v16, v13
	v_mad_u64_u32 v[16:17], s[6:7], s17, v17, v[16:17]
	v_mov_b32_e32 v13, v16
	v_pk_mul_f32 v[16:17], v[44:45], v[14:15] op_sel:[0,1]
	global_store_dwordx2 v[20:21], v[26:27], off
	v_pk_fma_f32 v[18:19], v[44:45], v[14:15], v[16:17] op_sel:[0,0,1] op_sel_hi:[1,1,0] neg_lo:[0,0,1] neg_hi:[0,0,1]
	v_pk_fma_f32 v[14:15], v[44:45], v[14:15], v[16:17] op_sel:[0,0,1] op_sel_hi:[1,0,0]
	v_lshl_add_u64 v[4:5], v[4:5], 3, v[28:29]
	v_mov_b32_e32 v14, v47
	v_mov_b32_e32 v19, v15
	v_pk_mul_f32 v[14:15], v[10:11], v[14:15] op_sel_hi:[1,0]
	v_lshl_add_u64 v[8:9], v[8:9], 3, v[28:29]
	v_pk_fma_f32 v[16:17], v[10:11], v[46:47], v[14:15] op_sel:[0,0,1] op_sel_hi:[1,1,0] neg_lo:[0,0,1] neg_hi:[0,0,1]
	v_pk_fma_f32 v[10:11], v[10:11], v[46:47], v[14:15] op_sel:[0,0,1] op_sel_hi:[1,0,0]
	v_lshl_add_u64 v[12:13], v[12:13], 3, v[28:29]
	v_mov_b32_e32 v17, v11
	v_pk_add_f32 v[10:11], v[18:19], v[16:17]
	v_pk_add_f32 v[14:15], v[18:19], v[16:17] neg_lo:[0,1] neg_hi:[0,1]
	v_pk_fma_f32 v[10:11], v[10:11], 0.5, v[6:7] op_sel_hi:[1,0,1] neg_lo:[1,0,0] neg_hi:[1,0,0]
	v_pk_mul_f32 v[14:15], v[14:15], s[2:3] op_sel_hi:[1,0]
	v_pk_add_f32 v[6:7], v[6:7], v[18:19]
	v_pk_add_f32 v[20:21], v[10:11], v[14:15] op_sel:[0,1] op_sel_hi:[1,0] neg_lo:[0,1] neg_hi:[0,1]
	v_pk_add_f32 v[10:11], v[10:11], v[14:15] op_sel:[0,1] op_sel_hi:[1,0]
	v_pk_add_f32 v[6:7], v[6:7], v[16:17]
	global_store_dwordx2 v[4:5], v[6:7], off
	v_mov_b32_e32 v4, v10
	v_mov_b32_e32 v5, v21
	;; [unrolled: 1-line block ×3, first 2 shown]
	global_store_dwordx2 v[8:9], v[4:5], off
	global_store_dwordx2 v[12:13], v[20:21], off
	s_and_b64 exec, exec, s[0:1]
	s_cbranch_execz .LBB0_18
; %bb.17:
	v_add_u32_e32 v15, 0xcc, v172
	v_subrev_u32_e32 v4, 17, v172
	v_cndmask_b32_e64 v4, v4, v15, s[0:1]
	v_lshlrev_b32_e32 v34, 1, v4
	v_lshl_add_u64 v[4:5], v[34:35], 3, s[4:5]
	global_load_dwordx4 v[4:7], v[4:5], off offset:1632
	v_add_u32_e32 v17, 0x1a9, v172
	v_add_u32_e32 v19, 0x286, v172
	v_mad_u64_u32 v[8:9], s[0:1], s16, v15, 0
	v_mad_u64_u32 v[10:11], s[0:1], s16, v17, 0
	;; [unrolled: 1-line block ×3, first 2 shown]
	v_mov_b32_e32 v14, v9
	v_mov_b32_e32 v16, v11
	;; [unrolled: 1-line block ×3, first 2 shown]
	v_mad_u64_u32 v[14:15], s[0:1], s17, v15, v[14:15]
	v_mad_u64_u32 v[16:17], s[0:1], s17, v17, v[16:17]
	;; [unrolled: 1-line block ×3, first 2 shown]
	v_mov_b32_e32 v9, v14
	v_mov_b32_e32 v11, v16
	;; [unrolled: 1-line block ×3, first 2 shown]
	v_lshl_add_u64 v[8:9], v[8:9], 3, v[28:29]
	v_lshl_add_u64 v[10:11], v[10:11], 3, v[28:29]
	v_lshl_add_u64 v[12:13], v[12:13], 3, v[28:29]
	s_waitcnt vmcnt(0)
	v_pk_mul_f32 v[14:15], v[2:3], v[4:5] op_sel:[1,0]
	v_pk_mul_f32 v[16:17], v[32:33], v[6:7] op_sel:[1,0]
	v_pk_fma_f32 v[18:19], v[2:3], v[4:5], v[14:15] op_sel:[0,0,1] op_sel_hi:[1,1,0] neg_lo:[0,0,1] neg_hi:[0,0,1]
	v_pk_fma_f32 v[2:3], v[2:3], v[4:5], v[14:15] op_sel:[0,0,1] op_sel_hi:[0,1,0]
	v_pk_fma_f32 v[4:5], v[32:33], v[6:7], v[16:17] op_sel:[0,0,1] op_sel_hi:[1,1,0] neg_lo:[0,0,1] neg_hi:[0,0,1]
	v_pk_fma_f32 v[6:7], v[32:33], v[6:7], v[16:17] op_sel:[0,0,1] op_sel_hi:[0,1,0]
	v_mov_b32_e32 v19, v3
	v_mov_b32_e32 v5, v7
	v_pk_add_f32 v[2:3], v[18:19], v[4:5]
	v_pk_add_f32 v[6:7], v[18:19], v[4:5] neg_lo:[0,1] neg_hi:[0,1]
	v_pk_add_f32 v[14:15], v[0:1], v[18:19]
	v_pk_fma_f32 v[0:1], -0.5, v[2:3], v[0:1] op_sel_hi:[0,1,1]
	v_pk_mul_f32 v[2:3], v[6:7], s[2:3] op_sel_hi:[1,0]
	v_pk_add_f32 v[4:5], v[14:15], v[4:5]
	v_pk_add_f32 v[6:7], v[0:1], v[2:3] op_sel:[0,1] op_sel_hi:[1,0]
	v_pk_add_f32 v[0:1], v[0:1], v[2:3] op_sel:[0,1] op_sel_hi:[1,0] neg_lo:[0,1] neg_hi:[0,1]
	v_mov_b32_e32 v2, v6
	v_mov_b32_e32 v3, v1
	global_store_dwordx2 v[8:9], v[4:5], off
	v_mov_b32_e32 v1, v7
	global_store_dwordx2 v[10:11], v[2:3], off
	global_store_dwordx2 v[12:13], v[0:1], off
.LBB0_18:
	s_endpgm
	.section	.rodata,"a",@progbits
	.p2align	6, 0x0
	.amdhsa_kernel fft_rtc_fwd_len663_factors_17_13_3_wgs_51_tpt_51_sp_op_CI_CI_sbrr_dirReg
		.amdhsa_group_segment_fixed_size 0
		.amdhsa_private_segment_fixed_size 0
		.amdhsa_kernarg_size 104
		.amdhsa_user_sgpr_count 2
		.amdhsa_user_sgpr_dispatch_ptr 0
		.amdhsa_user_sgpr_queue_ptr 0
		.amdhsa_user_sgpr_kernarg_segment_ptr 1
		.amdhsa_user_sgpr_dispatch_id 0
		.amdhsa_user_sgpr_kernarg_preload_length 0
		.amdhsa_user_sgpr_kernarg_preload_offset 0
		.amdhsa_user_sgpr_private_segment_size 0
		.amdhsa_uses_dynamic_stack 0
		.amdhsa_enable_private_segment 0
		.amdhsa_system_sgpr_workgroup_id_x 1
		.amdhsa_system_sgpr_workgroup_id_y 0
		.amdhsa_system_sgpr_workgroup_id_z 0
		.amdhsa_system_sgpr_workgroup_info 0
		.amdhsa_system_vgpr_workitem_id 0
		.amdhsa_next_free_vgpr 224
		.amdhsa_next_free_sgpr 72
		.amdhsa_accum_offset 224
		.amdhsa_reserve_vcc 1
		.amdhsa_float_round_mode_32 0
		.amdhsa_float_round_mode_16_64 0
		.amdhsa_float_denorm_mode_32 3
		.amdhsa_float_denorm_mode_16_64 3
		.amdhsa_dx10_clamp 1
		.amdhsa_ieee_mode 1
		.amdhsa_fp16_overflow 0
		.amdhsa_tg_split 0
		.amdhsa_exception_fp_ieee_invalid_op 0
		.amdhsa_exception_fp_denorm_src 0
		.amdhsa_exception_fp_ieee_div_zero 0
		.amdhsa_exception_fp_ieee_overflow 0
		.amdhsa_exception_fp_ieee_underflow 0
		.amdhsa_exception_fp_ieee_inexact 0
		.amdhsa_exception_int_div_zero 0
	.end_amdhsa_kernel
	.text
.Lfunc_end0:
	.size	fft_rtc_fwd_len663_factors_17_13_3_wgs_51_tpt_51_sp_op_CI_CI_sbrr_dirReg, .Lfunc_end0-fft_rtc_fwd_len663_factors_17_13_3_wgs_51_tpt_51_sp_op_CI_CI_sbrr_dirReg
                                        ; -- End function
	.section	.AMDGPU.csdata,"",@progbits
; Kernel info:
; codeLenInByte = 11504
; NumSgprs: 78
; NumVgprs: 224
; NumAgprs: 0
; TotalNumVgprs: 224
; ScratchSize: 0
; MemoryBound: 0
; FloatMode: 240
; IeeeMode: 1
; LDSByteSize: 0 bytes/workgroup (compile time only)
; SGPRBlocks: 9
; VGPRBlocks: 27
; NumSGPRsForWavesPerEU: 78
; NumVGPRsForWavesPerEU: 224
; AccumOffset: 224
; Occupancy: 2
; WaveLimiterHint : 1
; COMPUTE_PGM_RSRC2:SCRATCH_EN: 0
; COMPUTE_PGM_RSRC2:USER_SGPR: 2
; COMPUTE_PGM_RSRC2:TRAP_HANDLER: 0
; COMPUTE_PGM_RSRC2:TGID_X_EN: 1
; COMPUTE_PGM_RSRC2:TGID_Y_EN: 0
; COMPUTE_PGM_RSRC2:TGID_Z_EN: 0
; COMPUTE_PGM_RSRC2:TIDIG_COMP_CNT: 0
; COMPUTE_PGM_RSRC3_GFX90A:ACCUM_OFFSET: 55
; COMPUTE_PGM_RSRC3_GFX90A:TG_SPLIT: 0
	.text
	.p2alignl 6, 3212836864
	.fill 256, 4, 3212836864
	.type	__hip_cuid_b3f55a35c2812ce6,@object ; @__hip_cuid_b3f55a35c2812ce6
	.section	.bss,"aw",@nobits
	.globl	__hip_cuid_b3f55a35c2812ce6
__hip_cuid_b3f55a35c2812ce6:
	.byte	0                               ; 0x0
	.size	__hip_cuid_b3f55a35c2812ce6, 1

	.ident	"AMD clang version 19.0.0git (https://github.com/RadeonOpenCompute/llvm-project roc-6.4.0 25133 c7fe45cf4b819c5991fe208aaa96edf142730f1d)"
	.section	".note.GNU-stack","",@progbits
	.addrsig
	.addrsig_sym __hip_cuid_b3f55a35c2812ce6
	.amdgpu_metadata
---
amdhsa.kernels:
  - .agpr_count:     0
    .args:
      - .actual_access:  read_only
        .address_space:  global
        .offset:         0
        .size:           8
        .value_kind:     global_buffer
      - .offset:         8
        .size:           8
        .value_kind:     by_value
      - .actual_access:  read_only
        .address_space:  global
        .offset:         16
        .size:           8
        .value_kind:     global_buffer
      - .actual_access:  read_only
        .address_space:  global
        .offset:         24
        .size:           8
        .value_kind:     global_buffer
      - .actual_access:  read_only
        .address_space:  global
        .offset:         32
        .size:           8
        .value_kind:     global_buffer
      - .offset:         40
        .size:           8
        .value_kind:     by_value
      - .actual_access:  read_only
        .address_space:  global
        .offset:         48
        .size:           8
        .value_kind:     global_buffer
      - .actual_access:  read_only
        .address_space:  global
        .offset:         56
        .size:           8
        .value_kind:     global_buffer
      - .offset:         64
        .size:           4
        .value_kind:     by_value
      - .actual_access:  read_only
        .address_space:  global
        .offset:         72
        .size:           8
        .value_kind:     global_buffer
      - .actual_access:  read_only
        .address_space:  global
        .offset:         80
        .size:           8
        .value_kind:     global_buffer
      - .actual_access:  read_only
        .address_space:  global
        .offset:         88
        .size:           8
        .value_kind:     global_buffer
      - .actual_access:  write_only
        .address_space:  global
        .offset:         96
        .size:           8
        .value_kind:     global_buffer
    .group_segment_fixed_size: 0
    .kernarg_segment_align: 8
    .kernarg_segment_size: 104
    .language:       OpenCL C
    .language_version:
      - 2
      - 0
    .max_flat_workgroup_size: 51
    .name:           fft_rtc_fwd_len663_factors_17_13_3_wgs_51_tpt_51_sp_op_CI_CI_sbrr_dirReg
    .private_segment_fixed_size: 0
    .sgpr_count:     78
    .sgpr_spill_count: 0
    .symbol:         fft_rtc_fwd_len663_factors_17_13_3_wgs_51_tpt_51_sp_op_CI_CI_sbrr_dirReg.kd
    .uniform_work_group_size: 1
    .uses_dynamic_stack: false
    .vgpr_count:     224
    .vgpr_spill_count: 0
    .wavefront_size: 64
amdhsa.target:   amdgcn-amd-amdhsa--gfx950
amdhsa.version:
  - 1
  - 2
...

	.end_amdgpu_metadata
